;; amdgpu-corpus repo=ROCm/rocSOLVER kind=compiled arch=gfx1250 opt=O3
	.amdgcn_target "amdgcn-amd-amdhsa--gfx1250"
	.amdhsa_code_object_version 6
	.section	.text._ZN9rocsolver6v33100L10reset_infoIiiiEEvPT_T0_T1_S4_,"axG",@progbits,_ZN9rocsolver6v33100L10reset_infoIiiiEEvPT_T0_T1_S4_,comdat
	.globl	_ZN9rocsolver6v33100L10reset_infoIiiiEEvPT_T0_T1_S4_ ; -- Begin function _ZN9rocsolver6v33100L10reset_infoIiiiEEvPT_T0_T1_S4_
	.p2align	8
	.type	_ZN9rocsolver6v33100L10reset_infoIiiiEEvPT_T0_T1_S4_,@function
_ZN9rocsolver6v33100L10reset_infoIiiiEEvPT_T0_T1_S4_: ; @_ZN9rocsolver6v33100L10reset_infoIiiiEEvPT_T0_T1_S4_
; %bb.0:
	s_clause 0x1
	s_load_b32 s2, s[0:1], 0x24
	s_load_b96 s[4:6], s[0:1], 0x8
	s_bfe_u32 s3, ttmp6, 0x4000c
	s_and_b32 s7, ttmp6, 15
	s_add_co_i32 s3, s3, 1
	s_getreg_b32 s8, hwreg(HW_REG_IB_STS2, 6, 4)
	s_mul_i32 s3, ttmp9, s3
	s_delay_alu instid0(SALU_CYCLE_1) | instskip(SKIP_4) | instid1(SALU_CYCLE_1)
	s_add_co_i32 s7, s7, s3
	s_wait_kmcnt 0x0
	s_and_b32 s2, s2, 0xffff
	s_cmp_eq_u32 s8, 0
	s_cselect_b32 s3, ttmp9, s7
	v_mad_u32 v0, s3, s2, v0
	s_mov_b32 s2, exec_lo
	s_delay_alu instid0(VALU_DEP_1)
	v_cmpx_gt_i32_e64 s4, v0
	s_cbranch_execz .LBB0_2
; %bb.1:
	s_load_b64 s[0:1], s[0:1], 0x0
	v_mad_u32 v1, v0, s6, s5
	s_wait_kmcnt 0x0
	global_store_b32 v0, v1, s[0:1] scale_offset
.LBB0_2:
	s_endpgm
	.section	.rodata,"a",@progbits
	.p2align	6, 0x0
	.amdhsa_kernel _ZN9rocsolver6v33100L10reset_infoIiiiEEvPT_T0_T1_S4_
		.amdhsa_group_segment_fixed_size 0
		.amdhsa_private_segment_fixed_size 0
		.amdhsa_kernarg_size 280
		.amdhsa_user_sgpr_count 2
		.amdhsa_user_sgpr_dispatch_ptr 0
		.amdhsa_user_sgpr_queue_ptr 0
		.amdhsa_user_sgpr_kernarg_segment_ptr 1
		.amdhsa_user_sgpr_dispatch_id 0
		.amdhsa_user_sgpr_kernarg_preload_length 0
		.amdhsa_user_sgpr_kernarg_preload_offset 0
		.amdhsa_user_sgpr_private_segment_size 0
		.amdhsa_wavefront_size32 1
		.amdhsa_uses_dynamic_stack 0
		.amdhsa_enable_private_segment 0
		.amdhsa_system_sgpr_workgroup_id_x 1
		.amdhsa_system_sgpr_workgroup_id_y 0
		.amdhsa_system_sgpr_workgroup_id_z 0
		.amdhsa_system_sgpr_workgroup_info 0
		.amdhsa_system_vgpr_workitem_id 0
		.amdhsa_next_free_vgpr 2
		.amdhsa_next_free_sgpr 9
		.amdhsa_named_barrier_count 0
		.amdhsa_reserve_vcc 0
		.amdhsa_float_round_mode_32 0
		.amdhsa_float_round_mode_16_64 0
		.amdhsa_float_denorm_mode_32 3
		.amdhsa_float_denorm_mode_16_64 3
		.amdhsa_fp16_overflow 0
		.amdhsa_memory_ordered 1
		.amdhsa_forward_progress 1
		.amdhsa_inst_pref_size 2
		.amdhsa_round_robin_scheduling 0
		.amdhsa_exception_fp_ieee_invalid_op 0
		.amdhsa_exception_fp_denorm_src 0
		.amdhsa_exception_fp_ieee_div_zero 0
		.amdhsa_exception_fp_ieee_overflow 0
		.amdhsa_exception_fp_ieee_underflow 0
		.amdhsa_exception_fp_ieee_inexact 0
		.amdhsa_exception_int_div_zero 0
	.end_amdhsa_kernel
	.section	.text._ZN9rocsolver6v33100L10reset_infoIiiiEEvPT_T0_T1_S4_,"axG",@progbits,_ZN9rocsolver6v33100L10reset_infoIiiiEEvPT_T0_T1_S4_,comdat
.Lfunc_end0:
	.size	_ZN9rocsolver6v33100L10reset_infoIiiiEEvPT_T0_T1_S4_, .Lfunc_end0-_ZN9rocsolver6v33100L10reset_infoIiiiEEvPT_T0_T1_S4_
                                        ; -- End function
	.set _ZN9rocsolver6v33100L10reset_infoIiiiEEvPT_T0_T1_S4_.num_vgpr, 2
	.set _ZN9rocsolver6v33100L10reset_infoIiiiEEvPT_T0_T1_S4_.num_agpr, 0
	.set _ZN9rocsolver6v33100L10reset_infoIiiiEEvPT_T0_T1_S4_.numbered_sgpr, 9
	.set _ZN9rocsolver6v33100L10reset_infoIiiiEEvPT_T0_T1_S4_.num_named_barrier, 0
	.set _ZN9rocsolver6v33100L10reset_infoIiiiEEvPT_T0_T1_S4_.private_seg_size, 0
	.set _ZN9rocsolver6v33100L10reset_infoIiiiEEvPT_T0_T1_S4_.uses_vcc, 0
	.set _ZN9rocsolver6v33100L10reset_infoIiiiEEvPT_T0_T1_S4_.uses_flat_scratch, 0
	.set _ZN9rocsolver6v33100L10reset_infoIiiiEEvPT_T0_T1_S4_.has_dyn_sized_stack, 0
	.set _ZN9rocsolver6v33100L10reset_infoIiiiEEvPT_T0_T1_S4_.has_recursion, 0
	.set _ZN9rocsolver6v33100L10reset_infoIiiiEEvPT_T0_T1_S4_.has_indirect_call, 0
	.section	.AMDGPU.csdata,"",@progbits
; Kernel info:
; codeLenInByte = 136
; TotalNumSgprs: 9
; NumVgprs: 2
; ScratchSize: 0
; MemoryBound: 0
; FloatMode: 240
; IeeeMode: 1
; LDSByteSize: 0 bytes/workgroup (compile time only)
; SGPRBlocks: 0
; VGPRBlocks: 0
; NumSGPRsForWavesPerEU: 9
; NumVGPRsForWavesPerEU: 2
; NamedBarCnt: 0
; Occupancy: 16
; WaveLimiterHint : 0
; COMPUTE_PGM_RSRC2:SCRATCH_EN: 0
; COMPUTE_PGM_RSRC2:USER_SGPR: 2
; COMPUTE_PGM_RSRC2:TRAP_HANDLER: 0
; COMPUTE_PGM_RSRC2:TGID_X_EN: 1
; COMPUTE_PGM_RSRC2:TGID_Y_EN: 0
; COMPUTE_PGM_RSRC2:TGID_Z_EN: 0
; COMPUTE_PGM_RSRC2:TIDIG_COMP_CNT: 0
	.section	.text._ZN9rocsolver6v33100L18lasyf_kernel_upperIfPfEEviiPiT0_iilS3_lS3_PT_,"axG",@progbits,_ZN9rocsolver6v33100L18lasyf_kernel_upperIfPfEEviiPiT0_iilS3_lS3_PT_,comdat
	.globl	_ZN9rocsolver6v33100L18lasyf_kernel_upperIfPfEEviiPiT0_iilS3_lS3_PT_ ; -- Begin function _ZN9rocsolver6v33100L18lasyf_kernel_upperIfPfEEviiPiT0_iilS3_lS3_PT_
	.p2align	8
	.type	_ZN9rocsolver6v33100L18lasyf_kernel_upperIfPfEEviiPiT0_iilS3_lS3_PT_,@function
_ZN9rocsolver6v33100L18lasyf_kernel_upperIfPfEEviiPiT0_iilS3_lS3_PT_: ; @_ZN9rocsolver6v33100L18lasyf_kernel_upperIfPfEEviiPiT0_iilS3_lS3_PT_
; %bb.0:
	v_cmp_eq_u32_e64 s2, 0, v0
	s_and_saveexec_b32 s3, s2
; %bb.1:
	v_mov_b32_e32 v1, 0
	ds_store_b32 v1, v1 offset:2052
; %bb.2:
	s_or_b32 exec_lo, exec_lo, s3
	s_clause 0x4
	s_load_b64 s[16:17], s[0:1], 0x18
	s_load_b64 s[18:19], s[0:1], 0x0
	s_load_b256 s[4:11], s[0:1], 0x20
	s_load_b128 s[12:15], s[0:1], 0x8
	s_load_b64 s[22:23], s[0:1], 0x40
	s_wait_xcnt 0x0
	s_bfe_u32 s0, ttmp6, 0x40010
	s_bfe_u32 s1, ttmp6, 0x40004
	s_add_co_i32 s0, s0, 1
	s_getreg_b32 s3, hwreg(HW_REG_IB_STS2, 6, 4)
	s_mul_i32 s0, ttmp7, s0
	v_dual_lshlrev_b32 v2, 2, v0 :: v_dual_add_nc_u32 v1, 1, v0
	s_add_co_i32 s0, s1, s0
	s_wait_kmcnt 0x0
	s_ashr_i32 s21, s16, 31
	s_cmp_eq_u32 s3, 0
	s_mov_b32 s20, s16
	s_cselect_b32 s30, ttmp7, s0
	s_lshl_b64 s[24:25], s[20:21], 2
	s_ashr_i32 s31, s30, 31
	s_mul_i32 s0, s18, s30
	s_mul_u64 s[4:5], s[4:5], s[30:31]
	s_mul_u64 s[8:9], s[8:9], s[30:31]
	s_lshl_b64 s[26:27], s[4:5], 2
	s_mul_i32 s28, s0, s19
	s_add_co_i32 s16, s18, -1
	s_lshl_b64 s[4:5], s[8:9], 2
	s_add_nc_u64 s[20:21], s[14:15], s[26:27]
	s_ashr_i32 s29, s28, 31
	s_mov_b32 s1, s19
	s_cmp_lt_i32 s16, 0
	s_add_nc_u64 s[8:9], s[6:7], s[4:5]
	s_add_nc_u64 s[20:21], s[20:21], s[24:25]
	s_mov_b32 s34, s16
	s_cbranch_scc1 .LBB1_219
; %bb.3:
	v_dual_mov_b32 v3, 0 :: v_dual_add_nc_u32 v6, s19, v0
	s_lshl_b64 s[0:1], s[28:29], 2
	s_add_nc_u64 s[4:5], s[26:27], s[24:25]
	s_add_nc_u64 s[36:37], s[22:23], s[0:1]
	s_sub_co_i32 s33, s19, s18
	v_add_nc_u64_e32 v[4:5], s[36:37], v[2:3]
	v_subrev_nc_u32_e32 v10, s18, v6
	s_add_co_i32 s56, s19, -1
	s_sub_co_i32 s50, s18, s19
	s_add_nc_u64 s[38:39], s[14:15], s[4:5]
	s_cmp_eq_u32 s19, s18
	v_add_nc_u64_e32 v[6:7], s[38:39], v[2:3]
	v_add_nc_u64_e32 v[8:9], 4, v[4:5]
	s_cselect_b32 s6, -1, 0
	s_ashr_i32 s5, s18, 31
	s_mov_b32 s4, s18
	v_or_b32_e32 v18, 0x400, v2
	v_cmp_gt_u32_e64 s0, 0x80, v0
	v_cmp_gt_u32_e64 s1, 64, v0
	;; [unrolled: 1-line block ×3, first 2 shown]
	v_add_nc_u32_e32 v19, 1, v10
	s_lshl_b64 s[40:41], s[4:5], 2
	s_ashr_i32 s5, s17, 31
	s_mov_b32 s4, s17
	s_add_co_i32 s51, s17, 1
	s_lshl_b32 s52, s18, 1
	s_lshl_b64 s[42:43], s[4:5], 2
	s_lshl_b32 s53, s17, 8
	s_lshl_b32 s54, s18, 8
	s_mov_b32 s35, 0
	s_xor_b32 s55, s6, -1
	s_mov_b32 s34, s16
	s_branch .LBB1_6
.LBB1_4:                                ;   in Loop: Header=BB1_6 Depth=1
	s_wait_xcnt 0x0
	s_or_b32 exec_lo, exec_lo, s44
	s_add_co_i32 s34, s6, s34
	s_delay_alu instid0(SALU_CYCLE_1)
	s_add_co_i32 s56, s34, s33
	s_cmp_lt_i32 s34, 0
	s_cselect_b32 s4, -1, 0
.LBB1_5:                                ;   in Loop: Header=BB1_6 Depth=1
	s_delay_alu instid0(SALU_CYCLE_1)
	s_and_b32 vcc_lo, exec_lo, s4
	s_cbranch_vccnz .LBB1_218
.LBB1_6:                                ; =>This Loop Header: Depth=1
                                        ;     Child Loop BB1_9 Depth 2
                                        ;     Child Loop BB1_16 Depth 2
                                        ;       Child Loop BB1_18 Depth 3
                                        ;     Child Loop BB1_22 Depth 2
                                        ;     Child Loop BB1_67 Depth 2
	;; [unrolled: 1-line block ×4, first 2 shown]
                                        ;       Child Loop BB1_79 Depth 3
                                        ;     Child Loop BB1_84 Depth 2
                                        ;     Child Loop BB1_128 Depth 2
	;; [unrolled: 1-line block ×9, first 2 shown]
	s_cmp_le_i32 s34, s50
	s_cselect_b32 s4, -1, 0
	s_delay_alu instid0(SALU_CYCLE_1) | instskip(NEXT) | instid1(SALU_CYCLE_1)
	s_and_b32 s4, s55, s4
	s_and_b32 vcc_lo, exec_lo, s4
	s_mov_b32 s4, -1
	s_cbranch_vccnz .LBB1_5
; %bb.7:                                ;   in Loop: Header=BB1_6 Depth=1
	v_cmp_ge_i32_e64 s5, s34, v0
	s_and_saveexec_b32 s4, s5
	s_cbranch_execz .LBB1_10
; %bb.8:                                ;   in Loop: Header=BB1_6 Depth=1
	v_mad_u32 v10, s56, s18, v0
	v_mad_u32 v12, s34, s17, v0
	v_mov_b32_e32 v14, v0
	s_mov_b32 s6, 0
	s_delay_alu instid0(VALU_DEP_2) | instskip(NEXT) | instid1(VALU_DEP_1)
	v_dual_ashrrev_i32 v11, 31, v10 :: v_dual_ashrrev_i32 v13, 31, v12
	v_lshl_add_u64 v[10:11], v[10:11], 2, s[36:37]
	s_delay_alu instid0(VALU_DEP_2)
	v_lshl_add_u64 v[12:13], v[12:13], 2, s[38:39]
.LBB1_9:                                ;   Parent Loop BB1_6 Depth=1
                                        ; =>  This Inner Loop Header: Depth=2
	global_load_b32 v15, v[12:13], off
	v_add_nc_u32_e32 v14, 0x100, v14
	s_wait_xcnt 0x0
	v_add_nc_u64_e32 v[12:13], 0x400, v[12:13]
	s_delay_alu instid0(VALU_DEP_2)
	v_cmp_lt_i32_e32 vcc_lo, s34, v14
	s_or_b32 s6, vcc_lo, s6
	s_wait_loadcnt 0x0
	global_store_b32 v[10:11], v15, off
	s_wait_xcnt 0x0
	v_add_nc_u64_e32 v[10:11], 0x400, v[10:11]
	s_and_not1_b32 exec_lo, exec_lo, s6
	s_cbranch_execnz .LBB1_9
.LBB1_10:                               ;   in Loop: Header=BB1_6 Depth=1
	s_or_b32 exec_lo, exec_lo, s4
	s_cmp_ge_i32 s34, s16
	s_mov_b32 s4, -1
	s_cselect_b32 s57, -1, 0
	s_cmp_lt_i32 s34, s16
	s_wait_storecnt_dscnt 0x0
	s_barrier_signal -1
	s_barrier_wait -1
                                        ; implicit-def: $sgpr44
	s_cbranch_scc1 .LBB1_12
; %bb.11:                               ;   in Loop: Header=BB1_6 Depth=1
	s_mul_i32 s44, s56, s18
	s_mov_b32 s4, 0
	s_ashr_i32 s45, s44, 31
.LBB1_12:                               ;   in Loop: Header=BB1_6 Depth=1
	s_and_not1_b32 vcc_lo, exec_lo, s4
	s_cbranch_vccnz .LBB1_20
; %bb.13:                               ;   in Loop: Header=BB1_6 Depth=1
	s_mul_i32 s44, s56, s18
	s_delay_alu instid0(SALU_CYCLE_1)
	s_ashr_i32 s45, s44, 31
	s_and_saveexec_b32 s4, s5
	s_cbranch_execz .LBB1_19
; %bb.14:                               ;   in Loop: Header=BB1_6 Depth=1
	s_not_b32 s6, s34
	s_add_co_i32 s7, s34, 1
	s_add_co_i32 s46, s56, 1
	s_add_co_i32 s58, s18, s6
	s_mul_i32 s6, s7, s17
	s_mul_i32 s46, s46, s18
	s_ashr_i32 s7, s6, 31
	s_ashr_i32 s47, s46, 31
	s_lshl_b64 s[48:49], s[34:35], 2
	s_lshl_b64 s[46:47], s[46:47], 2
	;; [unrolled: 1-line block ×3, first 2 shown]
	v_lshl_add_u64 v[10:11], s[6:7], 2, v[6:7]
	v_mov_b32_e32 v14, v0
	s_add_nc_u64 s[48:49], s[36:37], s[48:49]
	s_cmp_gt_i32 s58, 0
	s_add_nc_u64 s[6:7], s[48:49], s[46:47]
	s_cselect_b32 s59, -1, 0
	s_add_nc_u64 s[46:47], s[36:37], s[60:61]
	s_mov_b32 s60, 0
	s_branch .LBB1_16
.LBB1_15:                               ;   in Loop: Header=BB1_16 Depth=2
	global_load_b32 v12, v14, s[46:47] scale_offset
	v_add_nc_u64_e32 v[10:11], 0x400, v[10:11]
	s_wait_loadcnt 0x0
	v_sub_f32_e32 v12, v12, v15
	global_store_b32 v14, v12, s[46:47] scale_offset
	s_wait_xcnt 0x0
	v_add_nc_u32_e32 v14, 0x100, v14
	s_delay_alu instid0(VALU_DEP_1) | instskip(SKIP_1) | instid1(SALU_CYCLE_1)
	v_cmp_lt_i32_e32 vcc_lo, s34, v14
	s_or_b32 s60, vcc_lo, s60
	s_and_not1_b32 exec_lo, exec_lo, s60
	s_cbranch_execz .LBB1_19
.LBB1_16:                               ;   Parent Loop BB1_6 Depth=1
                                        ; =>  This Loop Header: Depth=2
                                        ;       Child Loop BB1_18 Depth 3
	v_mov_b32_e32 v15, 0
	s_and_not1_b32 vcc_lo, exec_lo, s59
	s_cbranch_vccnz .LBB1_15
; %bb.17:                               ;   in Loop: Header=BB1_16 Depth=2
	v_mov_b64_e32 v[12:13], v[10:11]
	s_mov_b64 s[48:49], s[6:7]
	s_mov_b32 s61, s58
.LBB1_18:                               ;   Parent Loop BB1_6 Depth=1
                                        ;     Parent Loop BB1_16 Depth=2
                                        ; =>    This Inner Loop Header: Depth=3
	global_load_b32 v16, v[12:13], off
	global_load_b32 v17, v3, s[48:49]
	s_wait_xcnt 0x1
	v_add_nc_u64_e32 v[12:13], s[42:43], v[12:13]
	s_add_co_i32 s61, s61, -1
	s_wait_xcnt 0x0
	s_add_nc_u64 s[48:49], s[48:49], s[40:41]
	s_cmp_eq_u32 s61, 0
	s_wait_loadcnt 0x0
	v_fmac_f32_e32 v15, v16, v17
	s_cbranch_scc0 .LBB1_18
	s_branch .LBB1_15
.LBB1_19:                               ;   in Loop: Header=BB1_6 Depth=1
	s_or_b32 exec_lo, exec_lo, s4
	s_wait_storecnt 0x0
	s_barrier_signal -1
	s_barrier_wait -1
.LBB1_20:                               ;   in Loop: Header=BB1_6 Depth=1
	v_cmp_gt_i32_e64 s4, s34, v0
	v_mov_b32_e32 v12, 0
	v_bfrev_b32_e32 v13, -2
	s_and_saveexec_b32 s7, s4
	s_cbranch_execz .LBB1_24
; %bb.21:                               ;   in Loop: Header=BB1_6 Depth=1
	v_lshl_add_u64 v[10:11], s[44:45], 2, v[4:5]
	v_dual_mov_b32 v12, 0 :: v_dual_mov_b32 v14, v0
	v_bfrev_b32_e32 v13, -2
	s_mov_b32 s45, 0
.LBB1_22:                               ;   Parent Loop BB1_6 Depth=1
                                        ; =>  This Inner Loop Header: Depth=2
	global_load_b32 v15, v[10:11], off
	v_cmp_eq_u32_e32 vcc_lo, 0x7fffffff, v13
	v_add_nc_u32_e32 v16, 1, v14
	s_wait_xcnt 0x0
	v_add_nc_u64_e32 v[10:11], 0x400, v[10:11]
	s_wait_loadcnt 0x0
	v_cmp_lt_f32_e64 s46, v12, |v15|
	s_or_b32 vcc_lo, s46, vcc_lo
	v_dual_cndmask_b32 v13, v13, v16 :: v_dual_add_nc_u32 v14, 0x100, v14
	v_cndmask_b32_e64 v12, v12, |v15|, vcc_lo
	s_delay_alu instid0(VALU_DEP_2) | instskip(SKIP_1) | instid1(SALU_CYCLE_1)
	v_cmp_le_i32_e64 s6, s34, v14
	s_or_b32 s45, s6, s45
	s_and_not1_b32 exec_lo, exec_lo, s45
	s_cbranch_execnz .LBB1_22
; %bb.23:                               ;   in Loop: Header=BB1_6 Depth=1
	s_or_b32 exec_lo, exec_lo, s45
.LBB1_24:                               ;   in Loop: Header=BB1_6 Depth=1
	s_delay_alu instid0(SALU_CYCLE_1)
	s_or_b32 exec_lo, exec_lo, s7
	s_cmp_lt_i32 s34, 2
	ds_store_b32 v18, v12
	ds_store_b32 v2, v13
	s_wait_dscnt 0x0
	s_barrier_signal -1
	s_barrier_wait -1
	s_cbranch_scc1 .LBB1_61
; %bb.25:                               ;   in Loop: Header=BB1_6 Depth=1
	s_and_saveexec_b32 s7, s0
	s_cbranch_execz .LBB1_31
; %bb.26:                               ;   in Loop: Header=BB1_6 Depth=1
	ds_load_b32 v10, v18 offset:512
	ds_load_b32 v11, v2 offset:512
	s_mov_b32 s46, exec_lo
	s_wait_dscnt 0x1
	v_cmp_lt_f32_e64 s45, v12, v10
	v_cmpx_nlt_f32_e32 v12, v10
	s_cbranch_execz .LBB1_28
; %bb.27:                               ;   in Loop: Header=BB1_6 Depth=1
	v_cmp_eq_f32_e32 vcc_lo, v12, v10
	s_wait_dscnt 0x0
	v_cmp_gt_i32_e64 s6, v13, v11
	s_and_not1_b32 s45, s45, exec_lo
	s_and_b32 s6, vcc_lo, s6
	s_delay_alu instid0(SALU_CYCLE_1) | instskip(NEXT) | instid1(SALU_CYCLE_1)
	s_and_b32 s6, s6, exec_lo
	s_or_b32 s45, s45, s6
.LBB1_28:                               ;   in Loop: Header=BB1_6 Depth=1
	s_or_b32 exec_lo, exec_lo, s46
	s_and_saveexec_b32 s6, s45
	s_cbranch_execz .LBB1_30
; %bb.29:                               ;   in Loop: Header=BB1_6 Depth=1
	s_wait_dscnt 0x0
	v_dual_mov_b32 v13, v11 :: v_dual_mov_b32 v12, v10
	ds_store_b32 v18, v10
	ds_store_b32 v2, v11
.LBB1_30:                               ;   in Loop: Header=BB1_6 Depth=1
	s_or_b32 exec_lo, exec_lo, s6
.LBB1_31:                               ;   in Loop: Header=BB1_6 Depth=1
	s_delay_alu instid0(SALU_CYCLE_1)
	s_or_b32 exec_lo, exec_lo, s7
	s_wait_dscnt 0x0
	s_barrier_signal -1
	s_barrier_wait -1
	s_and_saveexec_b32 s7, s1
	s_cbranch_execz .LBB1_37
; %bb.32:                               ;   in Loop: Header=BB1_6 Depth=1
	ds_load_b32 v10, v18 offset:256
	ds_load_b32 v11, v2 offset:256
	s_mov_b32 s46, exec_lo
	s_wait_dscnt 0x1
	v_cmp_lt_f32_e64 s45, v12, v10
	v_cmpx_nlt_f32_e32 v12, v10
	s_cbranch_execz .LBB1_34
; %bb.33:                               ;   in Loop: Header=BB1_6 Depth=1
	v_cmp_eq_f32_e32 vcc_lo, v12, v10
	s_wait_dscnt 0x0
	v_cmp_gt_i32_e64 s6, v13, v11
	s_and_not1_b32 s45, s45, exec_lo
	s_and_b32 s6, vcc_lo, s6
	s_delay_alu instid0(SALU_CYCLE_1) | instskip(NEXT) | instid1(SALU_CYCLE_1)
	s_and_b32 s6, s6, exec_lo
	s_or_b32 s45, s45, s6
.LBB1_34:                               ;   in Loop: Header=BB1_6 Depth=1
	s_or_b32 exec_lo, exec_lo, s46
	s_and_saveexec_b32 s6, s45
	s_cbranch_execz .LBB1_36
; %bb.35:                               ;   in Loop: Header=BB1_6 Depth=1
	s_wait_dscnt 0x0
	v_dual_mov_b32 v13, v11 :: v_dual_mov_b32 v12, v10
	ds_store_b32 v18, v10
	ds_store_b32 v2, v11
.LBB1_36:                               ;   in Loop: Header=BB1_6 Depth=1
	s_or_b32 exec_lo, exec_lo, s6
.LBB1_37:                               ;   in Loop: Header=BB1_6 Depth=1
	s_delay_alu instid0(SALU_CYCLE_1)
	s_or_b32 exec_lo, exec_lo, s7
	s_wait_dscnt 0x0
	s_barrier_signal -1
	s_barrier_wait -1
	s_and_saveexec_b32 s45, s3
	s_cbranch_execz .LBB1_60
; %bb.38:                               ;   in Loop: Header=BB1_6 Depth=1
	ds_load_b32 v10, v18 offset:128
	ds_load_b32 v11, v2 offset:128
	s_mov_b32 s46, exec_lo
	s_wait_dscnt 0x1
	v_cmp_lt_f32_e64 s7, v12, v10
	v_cmpx_nlt_f32_e32 v12, v10
	s_cbranch_execz .LBB1_40
; %bb.39:                               ;   in Loop: Header=BB1_6 Depth=1
	v_cmp_eq_f32_e32 vcc_lo, v12, v10
	s_wait_dscnt 0x0
	v_cmp_gt_i32_e64 s6, v13, v11
	s_and_not1_b32 s7, s7, exec_lo
	s_and_b32 s6, vcc_lo, s6
	s_delay_alu instid0(SALU_CYCLE_1) | instskip(NEXT) | instid1(SALU_CYCLE_1)
	s_and_b32 s6, s6, exec_lo
	s_or_b32 s7, s7, s6
.LBB1_40:                               ;   in Loop: Header=BB1_6 Depth=1
	s_or_b32 exec_lo, exec_lo, s46
	s_and_saveexec_b32 s6, s7
	s_cbranch_execz .LBB1_42
; %bb.41:                               ;   in Loop: Header=BB1_6 Depth=1
	s_wait_dscnt 0x0
	v_dual_mov_b32 v12, v10 :: v_dual_mov_b32 v13, v11
	ds_store_b32 v18, v10
	ds_store_b32 v2, v11
.LBB1_42:                               ;   in Loop: Header=BB1_6 Depth=1
	s_or_b32 exec_lo, exec_lo, s6
	ds_load_b32 v10, v18 offset:64
	s_wait_dscnt 0x1
	ds_load_b32 v11, v2 offset:64
	s_mov_b32 s46, exec_lo
	s_wait_dscnt 0x1
	v_cmp_lt_f32_e64 s7, v12, v10
	v_cmpx_nlt_f32_e32 v12, v10
	s_cbranch_execz .LBB1_44
; %bb.43:                               ;   in Loop: Header=BB1_6 Depth=1
	v_cmp_eq_f32_e32 vcc_lo, v12, v10
	s_wait_dscnt 0x0
	v_cmp_gt_i32_e64 s6, v13, v11
	s_and_not1_b32 s7, s7, exec_lo
	s_and_b32 s6, vcc_lo, s6
	s_delay_alu instid0(SALU_CYCLE_1) | instskip(NEXT) | instid1(SALU_CYCLE_1)
	s_and_b32 s6, s6, exec_lo
	s_or_b32 s7, s7, s6
.LBB1_44:                               ;   in Loop: Header=BB1_6 Depth=1
	s_or_b32 exec_lo, exec_lo, s46
	s_and_saveexec_b32 s6, s7
	s_cbranch_execz .LBB1_46
; %bb.45:                               ;   in Loop: Header=BB1_6 Depth=1
	s_wait_dscnt 0x0
	v_dual_mov_b32 v12, v10 :: v_dual_mov_b32 v13, v11
	ds_store_b32 v18, v10
	ds_store_b32 v2, v11
.LBB1_46:                               ;   in Loop: Header=BB1_6 Depth=1
	s_or_b32 exec_lo, exec_lo, s6
	ds_load_b32 v10, v18 offset:32
	s_wait_dscnt 0x1
	;; [unrolled: 28-line block ×5, first 2 shown]
	ds_load_b32 v11, v2 offset:4
	s_wait_dscnt 0x1
	v_cmp_eq_f32_e32 vcc_lo, v12, v10
	s_wait_dscnt 0x0
	v_cmp_gt_i32_e64 s6, v13, v11
	v_cmp_lt_f32_e64 s7, v12, v10
	s_and_b32 s6, vcc_lo, s6
	s_delay_alu instid0(SALU_CYCLE_1) | instskip(NEXT) | instid1(SALU_CYCLE_1)
	s_or_b32 s6, s7, s6
	s_and_b32 exec_lo, exec_lo, s6
	s_cbranch_execz .LBB1_60
; %bb.59:                               ;   in Loop: Header=BB1_6 Depth=1
	ds_store_b32 v18, v10
	ds_store_b32 v2, v11
.LBB1_60:                               ;   in Loop: Header=BB1_6 Depth=1
	s_or_b32 exec_lo, exec_lo, s45
.LBB1_61:                               ;   in Loop: Header=BB1_6 Depth=1
	s_and_saveexec_b32 s6, s2
	s_cbranch_execz .LBB1_63
; %bb.62:                               ;   in Loop: Header=BB1_6 Depth=1
	s_add_co_i32 s7, s44, s34
	s_delay_alu instid0(SALU_CYCLE_1)
	v_mov_b32_e32 v10, s7
	global_load_b32 v12, v10, s[36:37] scale_offset
	s_wait_xcnt 0x0
	ds_load_2addr_stride64_b32 v[10:11], v3 offset1:4
	s_wait_dscnt 0x0
	v_add_nc_u32_e32 v13, -1, v10
	s_wait_loadcnt 0x0
	v_and_b32_e32 v10, 0x7fffffff, v12
	ds_store_b32 v3, v13 offset:2048
	ds_store_b64 v3, v[10:11] offset:2056
.LBB1_63:                               ;   in Loop: Header=BB1_6 Depth=1
	s_or_b32 exec_lo, exec_lo, s6
	s_wait_dscnt 0x0
	s_barrier_signal -1
	s_barrier_wait -1
	ds_load_b64 v[10:11], v3 offset:2056
	s_wait_dscnt 0x0
	v_readfirstlane_b32 s6, v10
	v_readfirstlane_b32 s7, v11
	s_cmp_lt_f32 s6, s7
	s_cselect_b32 s45, s7, s6
	s_delay_alu instid0(SALU_CYCLE_1)
	s_cmp_neq_f32 s45, 0
	s_cbranch_scc0 .LBB1_80
; %bb.64:                               ;   in Loop: Header=BB1_6 Depth=1
	s_mul_f32 s7, s7, 0x3f23f07b
	s_delay_alu instid0(SALU_CYCLE_3)
	s_cmp_ge_f32 s6, s7
	s_cbranch_scc1 .LBB1_176
; %bb.65:                               ;   in Loop: Header=BB1_6 Depth=1
	ds_load_b32 v14, v3 offset:2048
	s_mov_b32 s6, exec_lo
	s_wait_dscnt 0x0
	v_cmpx_le_i32_e64 v0, v14
	s_cbranch_execz .LBB1_68
; %bb.66:                               ;   in Loop: Header=BB1_6 Depth=1
	s_add_co_i32 s7, s56, -1
	v_mad_u32 v10, v14, s17, v0
	v_mad_u32 v12, s7, s18, v0
	v_mov_b32_e32 v15, v0
	s_mov_b32 s7, 0
	s_delay_alu instid0(VALU_DEP_2) | instskip(NEXT) | instid1(VALU_DEP_1)
	v_dual_ashrrev_i32 v11, 31, v10 :: v_dual_ashrrev_i32 v13, 31, v12
	v_lshl_add_u64 v[10:11], v[10:11], 2, s[38:39]
	s_delay_alu instid0(VALU_DEP_2)
	v_lshl_add_u64 v[12:13], v[12:13], 2, s[36:37]
.LBB1_67:                               ;   Parent Loop BB1_6 Depth=1
                                        ; =>  This Inner Loop Header: Depth=2
	global_load_b32 v16, v[10:11], off
	v_add_nc_u32_e32 v15, 0x100, v15
	s_wait_xcnt 0x0
	v_add_nc_u64_e32 v[10:11], 0x400, v[10:11]
	s_delay_alu instid0(VALU_DEP_2)
	v_cmp_gt_i32_e32 vcc_lo, v15, v14
	s_or_b32 s7, vcc_lo, s7
	s_wait_loadcnt 0x0
	global_store_b32 v[12:13], v16, off
	s_wait_xcnt 0x0
	v_add_nc_u64_e32 v[12:13], 0x400, v[12:13]
	s_and_not1_b32 exec_lo, exec_lo, s7
	s_cbranch_execnz .LBB1_67
.LBB1_68:                               ;   in Loop: Header=BB1_6 Depth=1
	s_or_b32 exec_lo, exec_lo, s6
	v_sub_nc_u32_e32 v10, s34, v14
	s_mov_b32 s6, exec_lo
	s_delay_alu instid0(VALU_DEP_1)
	v_cmpx_lt_i32_e64 v0, v10
	s_cbranch_execz .LBB1_71
; %bb.69:                               ;   in Loop: Header=BB1_6 Depth=1
	s_add_co_i32 s7, s56, -1
	v_mov_b32_e32 v13, v0
	s_mul_i32 s7, s7, s18
	s_delay_alu instid0(SALU_CYCLE_1) | instskip(SKIP_1) | instid1(VALU_DEP_1)
	v_dual_add_nc_u32 v11, v1, v14 :: v_dual_add_nc_u32 v12, s7, v14
	s_mov_b32 s7, 0
	v_mad_u32 v11, s17, v11, v14
	s_delay_alu instid0(VALU_DEP_2)
	v_add_nc_u32_e32 v12, 1, v12
.LBB1_70:                               ;   Parent Loop BB1_6 Depth=1
                                        ; =>  This Inner Loop Header: Depth=2
	global_load_b32 v14, v11, s[20:21] scale_offset
	s_wait_xcnt 0x0
	v_dual_add_nc_u32 v15, v12, v13 :: v_dual_add_nc_u32 v11, s53, v11
	v_add_nc_u32_e32 v13, 0x100, v13
	s_delay_alu instid0(VALU_DEP_1)
	v_cmp_ge_i32_e32 vcc_lo, v13, v10
	s_or_b32 s7, vcc_lo, s7
	s_wait_loadcnt 0x0
	global_store_b32 v15, v14, s[36:37] scale_offset
	s_wait_xcnt 0x0
	s_and_not1_b32 exec_lo, exec_lo, s7
	s_cbranch_execnz .LBB1_70
.LBB1_71:                               ;   in Loop: Header=BB1_6 Depth=1
	s_or_b32 exec_lo, exec_lo, s6
	s_delay_alu instid0(SALU_CYCLE_1)
	s_and_not1_b32 vcc_lo, exec_lo, s57
	s_mov_b32 s6, -1
	s_wait_storecnt 0x0
	s_barrier_signal -1
	s_barrier_wait -1
                                        ; implicit-def: $sgpr46
	s_cbranch_vccnz .LBB1_73
; %bb.72:                               ;   in Loop: Header=BB1_6 Depth=1
	s_add_co_i32 s6, s56, -1
	s_delay_alu instid0(SALU_CYCLE_1)
	s_mul_i32 s46, s6, s18
	s_mov_b32 s6, 0
	s_ashr_i32 s47, s46, 31
.LBB1_73:                               ;   in Loop: Header=BB1_6 Depth=1
	s_and_not1_b32 vcc_lo, exec_lo, s6
	s_cbranch_vccnz .LBB1_82
; %bb.74:                               ;   in Loop: Header=BB1_6 Depth=1
	s_add_co_i32 s6, s56, 1
	s_delay_alu instid0(SALU_CYCLE_1) | instskip(NEXT) | instid1(SALU_CYCLE_1)
	s_mul_i32 s6, s6, s18
	s_sub_co_i32 s46, s6, s52
	s_delay_alu instid0(SALU_CYCLE_1)
	s_ashr_i32 s47, s46, 31
	s_and_saveexec_b32 s45, s5
	s_cbranch_execz .LBB1_81
; %bb.75:                               ;   in Loop: Header=BB1_6 Depth=1
	ds_load_b32 v10, v3 offset:2048
	s_add_co_i32 s49, s34, 1
	s_ashr_i32 s7, s6, 31
	s_mul_i32 s60, s49, s17
	s_lshl_b64 s[6:7], s[6:7], 2
	s_not_b32 s48, s34
	s_ashr_i32 s61, s60, 31
	s_add_co_i32 s48, s18, s48
	s_lshl_b64 s[58:59], s[46:47], 2
	v_lshl_add_u64 v[12:13], s[60:61], 2, v[6:7]
	s_cmp_gt_i32 s48, 0
	s_mov_b32 s49, 0
	s_cselect_b32 s57, -1, 0
	s_wait_dscnt 0x0
	v_dual_mov_b32 v20, v0 :: v_dual_ashrrev_i32 v11, 31, v10
	s_delay_alu instid0(VALU_DEP_1) | instskip(NEXT) | instid1(VALU_DEP_1)
	v_lshlrev_b64_e32 v[10:11], 2, v[10:11]
	v_add_nc_u64_e32 v[10:11], s[36:37], v[10:11]
	s_delay_alu instid0(VALU_DEP_1)
	v_add_nc_u64_e32 v[10:11], s[6:7], v[10:11]
	s_add_nc_u64 s[6:7], s[36:37], s[58:59]
	s_branch .LBB1_77
.LBB1_76:                               ;   in Loop: Header=BB1_77 Depth=2
	global_load_b32 v14, v20, s[6:7] scale_offset
	v_add_nc_u64_e32 v[12:13], 0x400, v[12:13]
	s_wait_loadcnt 0x0
	v_sub_f32_e32 v14, v14, v21
	global_store_b32 v20, v14, s[6:7] scale_offset
	s_wait_xcnt 0x0
	v_add_nc_u32_e32 v20, 0x100, v20
	s_delay_alu instid0(VALU_DEP_1) | instskip(SKIP_1) | instid1(SALU_CYCLE_1)
	v_cmp_lt_i32_e32 vcc_lo, s34, v20
	s_or_b32 s49, vcc_lo, s49
	s_and_not1_b32 exec_lo, exec_lo, s49
	s_cbranch_execz .LBB1_81
.LBB1_77:                               ;   Parent Loop BB1_6 Depth=1
                                        ; =>  This Loop Header: Depth=2
                                        ;       Child Loop BB1_79 Depth 3
	v_mov_b32_e32 v21, 0
	s_and_not1_b32 vcc_lo, exec_lo, s57
	s_cbranch_vccnz .LBB1_76
; %bb.78:                               ;   in Loop: Header=BB1_77 Depth=2
	v_mov_b64_e32 v[14:15], v[12:13]
	v_mov_b64_e32 v[16:17], v[10:11]
	s_mov_b32 s58, s48
.LBB1_79:                               ;   Parent Loop BB1_6 Depth=1
                                        ;     Parent Loop BB1_77 Depth=2
                                        ; =>    This Inner Loop Header: Depth=3
	global_load_b32 v22, v[14:15], off
	global_load_b32 v23, v[16:17], off
	s_wait_xcnt 0x0
	v_add_nc_u64_e32 v[16:17], s[40:41], v[16:17]
	v_add_nc_u64_e32 v[14:15], s[42:43], v[14:15]
	s_add_co_i32 s58, s58, -1
	s_delay_alu instid0(SALU_CYCLE_1)
	s_cmp_eq_u32 s58, 0
	s_wait_loadcnt 0x0
	v_fmac_f32_e32 v21, v22, v23
	s_cbranch_scc0 .LBB1_79
	s_branch .LBB1_76
.LBB1_80:                               ;   in Loop: Header=BB1_6 Depth=1
	s_mov_b32 s5, -1
                                        ; implicit-def: $sgpr47
                                        ; implicit-def: $sgpr6
                                        ; implicit-def: $sgpr7
	s_branch .LBB1_208
.LBB1_81:                               ;   in Loop: Header=BB1_6 Depth=1
	s_or_b32 exec_lo, exec_lo, s45
	s_wait_storecnt 0x0
	s_barrier_signal -1
	s_barrier_wait -1
.LBB1_82:                               ;   in Loop: Header=BB1_6 Depth=1
	ds_load_b32 v10, v3 offset:2048
	v_bfrev_b32_e32 v13, -2
	s_mov_b32 s7, exec_lo
	s_wait_dscnt 0x0
	v_dual_mov_b32 v12, 0 :: v_dual_sub_nc_u32 v14, s34, v10
	s_delay_alu instid0(VALU_DEP_1)
	v_cmpx_lt_i32_e64 v0, v14
	s_cbranch_execz .LBB1_86
; %bb.83:                               ;   in Loop: Header=BB1_6 Depth=1
	v_dual_mov_b32 v12, 0 :: v_dual_ashrrev_i32 v11, 31, v10
	s_lshl_b64 s[48:49], s[46:47], 2
	v_bfrev_b32_e32 v13, -2
	v_mov_b32_e32 v15, v0
	s_delay_alu instid0(VALU_DEP_3) | instskip(SKIP_1) | instid1(VALU_DEP_1)
	v_lshlrev_b64_e32 v[10:11], 2, v[10:11]
	s_mov_b32 s45, 0
	v_add_nc_u64_e32 v[10:11], s[48:49], v[10:11]
	s_delay_alu instid0(VALU_DEP_1)
	v_add_nc_u64_e32 v[10:11], v[8:9], v[10:11]
.LBB1_84:                               ;   Parent Loop BB1_6 Depth=1
                                        ; =>  This Inner Loop Header: Depth=2
	global_load_b32 v16, v[10:11], off
	v_cmp_eq_u32_e32 vcc_lo, 0x7fffffff, v13
	v_add_nc_u32_e32 v17, 1, v15
	v_add_nc_u32_e32 v15, 0x100, v15
	s_wait_xcnt 0x0
	v_add_nc_u64_e32 v[10:11], 0x400, v[10:11]
	s_delay_alu instid0(VALU_DEP_2)
	v_cmp_ge_i32_e64 s6, v15, v14
	s_wait_loadcnt 0x0
	v_cmp_lt_f32_e64 s48, v12, |v16|
	s_or_b32 vcc_lo, s48, vcc_lo
	s_or_b32 s45, s6, s45
	v_cndmask_b32_e64 v12, v12, |v16|, vcc_lo
	v_cndmask_b32_e32 v13, v13, v17, vcc_lo
	s_and_not1_b32 exec_lo, exec_lo, s45
	s_cbranch_execnz .LBB1_84
; %bb.85:                               ;   in Loop: Header=BB1_6 Depth=1
	s_or_b32 exec_lo, exec_lo, s45
.LBB1_86:                               ;   in Loop: Header=BB1_6 Depth=1
	s_delay_alu instid0(SALU_CYCLE_1)
	s_or_b32 exec_lo, exec_lo, s7
	v_cmp_gt_i32_e32 vcc_lo, 2, v14
	ds_store_b32 v18, v12
	ds_store_b32 v2, v13
	s_wait_dscnt 0x0
	s_barrier_signal -1
	s_barrier_wait -1
	s_cbranch_vccnz .LBB1_123
; %bb.87:                               ;   in Loop: Header=BB1_6 Depth=1
	s_and_saveexec_b32 s7, s0
	s_cbranch_execz .LBB1_93
; %bb.88:                               ;   in Loop: Header=BB1_6 Depth=1
	ds_load_b32 v10, v18 offset:512
	ds_load_b32 v11, v2 offset:512
	s_mov_b32 s48, exec_lo
	s_wait_dscnt 0x1
	v_cmp_lt_f32_e64 s45, v12, v10
	v_cmpx_nlt_f32_e32 v12, v10
	s_cbranch_execz .LBB1_90
; %bb.89:                               ;   in Loop: Header=BB1_6 Depth=1
	v_cmp_eq_f32_e32 vcc_lo, v12, v10
	s_wait_dscnt 0x0
	v_cmp_gt_i32_e64 s6, v13, v11
	s_and_not1_b32 s45, s45, exec_lo
	s_and_b32 s6, vcc_lo, s6
	s_delay_alu instid0(SALU_CYCLE_1) | instskip(NEXT) | instid1(SALU_CYCLE_1)
	s_and_b32 s6, s6, exec_lo
	s_or_b32 s45, s45, s6
.LBB1_90:                               ;   in Loop: Header=BB1_6 Depth=1
	s_or_b32 exec_lo, exec_lo, s48
	s_and_saveexec_b32 s6, s45
	s_cbranch_execz .LBB1_92
; %bb.91:                               ;   in Loop: Header=BB1_6 Depth=1
	s_wait_dscnt 0x0
	v_dual_mov_b32 v13, v11 :: v_dual_mov_b32 v12, v10
	ds_store_b32 v18, v10
	ds_store_b32 v2, v11
.LBB1_92:                               ;   in Loop: Header=BB1_6 Depth=1
	s_or_b32 exec_lo, exec_lo, s6
.LBB1_93:                               ;   in Loop: Header=BB1_6 Depth=1
	s_delay_alu instid0(SALU_CYCLE_1)
	s_or_b32 exec_lo, exec_lo, s7
	s_wait_dscnt 0x0
	s_barrier_signal -1
	s_barrier_wait -1
	s_and_saveexec_b32 s7, s1
	s_cbranch_execz .LBB1_99
; %bb.94:                               ;   in Loop: Header=BB1_6 Depth=1
	ds_load_b32 v10, v18 offset:256
	ds_load_b32 v11, v2 offset:256
	s_mov_b32 s48, exec_lo
	s_wait_dscnt 0x1
	v_cmp_lt_f32_e64 s45, v12, v10
	v_cmpx_nlt_f32_e32 v12, v10
	s_cbranch_execz .LBB1_96
; %bb.95:                               ;   in Loop: Header=BB1_6 Depth=1
	v_cmp_eq_f32_e32 vcc_lo, v12, v10
	s_wait_dscnt 0x0
	v_cmp_gt_i32_e64 s6, v13, v11
	s_and_not1_b32 s45, s45, exec_lo
	s_and_b32 s6, vcc_lo, s6
	s_delay_alu instid0(SALU_CYCLE_1) | instskip(NEXT) | instid1(SALU_CYCLE_1)
	s_and_b32 s6, s6, exec_lo
	s_or_b32 s45, s45, s6
.LBB1_96:                               ;   in Loop: Header=BB1_6 Depth=1
	s_or_b32 exec_lo, exec_lo, s48
	s_and_saveexec_b32 s6, s45
	s_cbranch_execz .LBB1_98
; %bb.97:                               ;   in Loop: Header=BB1_6 Depth=1
	s_wait_dscnt 0x0
	v_dual_mov_b32 v13, v11 :: v_dual_mov_b32 v12, v10
	ds_store_b32 v18, v10
	ds_store_b32 v2, v11
.LBB1_98:                               ;   in Loop: Header=BB1_6 Depth=1
	s_or_b32 exec_lo, exec_lo, s6
.LBB1_99:                               ;   in Loop: Header=BB1_6 Depth=1
	s_delay_alu instid0(SALU_CYCLE_1)
	s_or_b32 exec_lo, exec_lo, s7
	s_wait_dscnt 0x0
	s_barrier_signal -1
	s_barrier_wait -1
	s_and_saveexec_b32 s45, s3
	s_cbranch_execz .LBB1_122
; %bb.100:                              ;   in Loop: Header=BB1_6 Depth=1
	ds_load_b32 v10, v18 offset:128
	ds_load_b32 v11, v2 offset:128
	s_mov_b32 s48, exec_lo
	s_wait_dscnt 0x1
	v_cmp_lt_f32_e64 s7, v12, v10
	v_cmpx_nlt_f32_e32 v12, v10
	s_cbranch_execz .LBB1_102
; %bb.101:                              ;   in Loop: Header=BB1_6 Depth=1
	v_cmp_eq_f32_e32 vcc_lo, v12, v10
	s_wait_dscnt 0x0
	v_cmp_gt_i32_e64 s6, v13, v11
	s_and_not1_b32 s7, s7, exec_lo
	s_and_b32 s6, vcc_lo, s6
	s_delay_alu instid0(SALU_CYCLE_1) | instskip(NEXT) | instid1(SALU_CYCLE_1)
	s_and_b32 s6, s6, exec_lo
	s_or_b32 s7, s7, s6
.LBB1_102:                              ;   in Loop: Header=BB1_6 Depth=1
	s_or_b32 exec_lo, exec_lo, s48
	s_and_saveexec_b32 s6, s7
	s_cbranch_execz .LBB1_104
; %bb.103:                              ;   in Loop: Header=BB1_6 Depth=1
	s_wait_dscnt 0x0
	v_dual_mov_b32 v12, v10 :: v_dual_mov_b32 v13, v11
	ds_store_b32 v18, v10
	ds_store_b32 v2, v11
.LBB1_104:                              ;   in Loop: Header=BB1_6 Depth=1
	s_or_b32 exec_lo, exec_lo, s6
	ds_load_b32 v10, v18 offset:64
	s_wait_dscnt 0x1
	ds_load_b32 v11, v2 offset:64
	s_mov_b32 s48, exec_lo
	s_wait_dscnt 0x1
	v_cmp_lt_f32_e64 s7, v12, v10
	v_cmpx_nlt_f32_e32 v12, v10
	s_cbranch_execz .LBB1_106
; %bb.105:                              ;   in Loop: Header=BB1_6 Depth=1
	v_cmp_eq_f32_e32 vcc_lo, v12, v10
	s_wait_dscnt 0x0
	v_cmp_gt_i32_e64 s6, v13, v11
	s_and_not1_b32 s7, s7, exec_lo
	s_and_b32 s6, vcc_lo, s6
	s_delay_alu instid0(SALU_CYCLE_1) | instskip(NEXT) | instid1(SALU_CYCLE_1)
	s_and_b32 s6, s6, exec_lo
	s_or_b32 s7, s7, s6
.LBB1_106:                              ;   in Loop: Header=BB1_6 Depth=1
	s_or_b32 exec_lo, exec_lo, s48
	s_and_saveexec_b32 s6, s7
	s_cbranch_execz .LBB1_108
; %bb.107:                              ;   in Loop: Header=BB1_6 Depth=1
	s_wait_dscnt 0x0
	v_dual_mov_b32 v12, v10 :: v_dual_mov_b32 v13, v11
	ds_store_b32 v18, v10
	ds_store_b32 v2, v11
.LBB1_108:                              ;   in Loop: Header=BB1_6 Depth=1
	s_or_b32 exec_lo, exec_lo, s6
	ds_load_b32 v10, v18 offset:32
	s_wait_dscnt 0x1
	;; [unrolled: 28-line block ×5, first 2 shown]
	ds_load_b32 v11, v2 offset:4
	s_wait_dscnt 0x1
	v_cmp_eq_f32_e32 vcc_lo, v12, v10
	s_wait_dscnt 0x0
	v_cmp_gt_i32_e64 s6, v13, v11
	v_cmp_lt_f32_e64 s7, v12, v10
	s_and_b32 s6, vcc_lo, s6
	s_delay_alu instid0(SALU_CYCLE_1) | instskip(NEXT) | instid1(SALU_CYCLE_1)
	s_or_b32 s6, s7, s6
	s_and_b32 exec_lo, exec_lo, s6
	s_cbranch_execz .LBB1_122
; %bb.121:                              ;   in Loop: Header=BB1_6 Depth=1
	ds_store_b32 v18, v10
	ds_store_b32 v2, v11
.LBB1_122:                              ;   in Loop: Header=BB1_6 Depth=1
	s_or_b32 exec_lo, exec_lo, s45
.LBB1_123:                              ;   in Loop: Header=BB1_6 Depth=1
	s_and_saveexec_b32 s6, s2
	s_cbranch_execz .LBB1_125
; %bb.124:                              ;   in Loop: Header=BB1_6 Depth=1
	ds_load_b32 v10, v3 offset:1024
	s_wait_dscnt 0x0
	ds_store_b32 v3, v10 offset:2064
.LBB1_125:                              ;   in Loop: Header=BB1_6 Depth=1
	s_or_b32 exec_lo, exec_lo, s6
	ds_load_b32 v14, v3 offset:2048
	s_wait_dscnt 0x0
	v_cmp_gt_i32_e32 vcc_lo, 1, v14
	s_cbranch_vccnz .LBB1_170
; %bb.126:                              ;   in Loop: Header=BB1_6 Depth=1
	v_mov_b32_e32 v12, 0
	v_bfrev_b32_e32 v13, -2
	s_mov_b32 s7, exec_lo
	v_cmpx_lt_i32_e64 v0, v14
	s_cbranch_execz .LBB1_130
; %bb.127:                              ;   in Loop: Header=BB1_6 Depth=1
	v_lshl_add_u64 v[10:11], s[46:47], 2, v[4:5]
	v_dual_mov_b32 v12, 0 :: v_dual_mov_b32 v15, v0
	v_bfrev_b32_e32 v13, -2
	s_mov_b32 s45, 0
.LBB1_128:                              ;   Parent Loop BB1_6 Depth=1
                                        ; =>  This Inner Loop Header: Depth=2
	global_load_b32 v16, v[10:11], off
	v_cmp_eq_u32_e32 vcc_lo, 0x7fffffff, v13
	v_add_nc_u32_e32 v17, 1, v15
	v_add_nc_u32_e32 v15, 0x100, v15
	s_wait_xcnt 0x0
	v_add_nc_u64_e32 v[10:11], 0x400, v[10:11]
	s_delay_alu instid0(VALU_DEP_2)
	v_cmp_ge_i32_e64 s6, v15, v14
	s_wait_loadcnt 0x0
	v_cmp_lt_f32_e64 s47, v12, |v16|
	s_or_b32 vcc_lo, s47, vcc_lo
	s_or_b32 s45, s6, s45
	v_cndmask_b32_e64 v12, v12, |v16|, vcc_lo
	v_cndmask_b32_e32 v13, v13, v17, vcc_lo
	s_and_not1_b32 exec_lo, exec_lo, s45
	s_cbranch_execnz .LBB1_128
; %bb.129:                              ;   in Loop: Header=BB1_6 Depth=1
	s_or_b32 exec_lo, exec_lo, s45
.LBB1_130:                              ;   in Loop: Header=BB1_6 Depth=1
	s_delay_alu instid0(SALU_CYCLE_1)
	s_or_b32 exec_lo, exec_lo, s7
	v_cmp_eq_u32_e32 vcc_lo, 1, v14
	ds_store_b32 v18, v12
	ds_store_b32 v2, v13
	s_wait_dscnt 0x0
	s_barrier_signal -1
	s_barrier_wait -1
	s_cbranch_vccnz .LBB1_167
; %bb.131:                              ;   in Loop: Header=BB1_6 Depth=1
	s_and_saveexec_b32 s7, s0
	s_cbranch_execz .LBB1_137
; %bb.132:                              ;   in Loop: Header=BB1_6 Depth=1
	ds_load_b32 v10, v18 offset:512
	ds_load_b32 v11, v2 offset:512
	s_mov_b32 s47, exec_lo
	s_wait_dscnt 0x1
	v_cmp_lt_f32_e64 s45, v12, v10
	v_cmpx_nlt_f32_e32 v12, v10
	s_cbranch_execz .LBB1_134
; %bb.133:                              ;   in Loop: Header=BB1_6 Depth=1
	v_cmp_eq_f32_e32 vcc_lo, v12, v10
	s_wait_dscnt 0x0
	v_cmp_gt_i32_e64 s6, v13, v11
	s_and_not1_b32 s45, s45, exec_lo
	s_and_b32 s6, vcc_lo, s6
	s_delay_alu instid0(SALU_CYCLE_1) | instskip(NEXT) | instid1(SALU_CYCLE_1)
	s_and_b32 s6, s6, exec_lo
	s_or_b32 s45, s45, s6
.LBB1_134:                              ;   in Loop: Header=BB1_6 Depth=1
	s_or_b32 exec_lo, exec_lo, s47
	s_and_saveexec_b32 s6, s45
	s_cbranch_execz .LBB1_136
; %bb.135:                              ;   in Loop: Header=BB1_6 Depth=1
	s_wait_dscnt 0x0
	v_dual_mov_b32 v13, v11 :: v_dual_mov_b32 v12, v10
	ds_store_b32 v18, v10
	ds_store_b32 v2, v11
.LBB1_136:                              ;   in Loop: Header=BB1_6 Depth=1
	s_or_b32 exec_lo, exec_lo, s6
.LBB1_137:                              ;   in Loop: Header=BB1_6 Depth=1
	s_delay_alu instid0(SALU_CYCLE_1)
	s_or_b32 exec_lo, exec_lo, s7
	s_wait_dscnt 0x0
	s_barrier_signal -1
	s_barrier_wait -1
	s_and_saveexec_b32 s7, s1
	s_cbranch_execz .LBB1_143
; %bb.138:                              ;   in Loop: Header=BB1_6 Depth=1
	ds_load_b32 v10, v18 offset:256
	ds_load_b32 v11, v2 offset:256
	s_mov_b32 s47, exec_lo
	s_wait_dscnt 0x1
	v_cmp_lt_f32_e64 s45, v12, v10
	v_cmpx_nlt_f32_e32 v12, v10
	s_cbranch_execz .LBB1_140
; %bb.139:                              ;   in Loop: Header=BB1_6 Depth=1
	v_cmp_eq_f32_e32 vcc_lo, v12, v10
	s_wait_dscnt 0x0
	v_cmp_gt_i32_e64 s6, v13, v11
	s_and_not1_b32 s45, s45, exec_lo
	s_and_b32 s6, vcc_lo, s6
	s_delay_alu instid0(SALU_CYCLE_1) | instskip(NEXT) | instid1(SALU_CYCLE_1)
	s_and_b32 s6, s6, exec_lo
	s_or_b32 s45, s45, s6
.LBB1_140:                              ;   in Loop: Header=BB1_6 Depth=1
	s_or_b32 exec_lo, exec_lo, s47
	s_and_saveexec_b32 s6, s45
	s_cbranch_execz .LBB1_142
; %bb.141:                              ;   in Loop: Header=BB1_6 Depth=1
	s_wait_dscnt 0x0
	v_dual_mov_b32 v13, v11 :: v_dual_mov_b32 v12, v10
	ds_store_b32 v18, v10
	ds_store_b32 v2, v11
.LBB1_142:                              ;   in Loop: Header=BB1_6 Depth=1
	s_or_b32 exec_lo, exec_lo, s6
.LBB1_143:                              ;   in Loop: Header=BB1_6 Depth=1
	s_delay_alu instid0(SALU_CYCLE_1)
	s_or_b32 exec_lo, exec_lo, s7
	s_wait_dscnt 0x0
	s_barrier_signal -1
	s_barrier_wait -1
	s_and_saveexec_b32 s45, s3
	s_cbranch_execz .LBB1_166
; %bb.144:                              ;   in Loop: Header=BB1_6 Depth=1
	ds_load_b32 v10, v18 offset:128
	ds_load_b32 v11, v2 offset:128
	s_mov_b32 s47, exec_lo
	s_wait_dscnt 0x1
	v_cmp_lt_f32_e64 s7, v12, v10
	v_cmpx_nlt_f32_e32 v12, v10
	s_cbranch_execz .LBB1_146
; %bb.145:                              ;   in Loop: Header=BB1_6 Depth=1
	v_cmp_eq_f32_e32 vcc_lo, v12, v10
	s_wait_dscnt 0x0
	v_cmp_gt_i32_e64 s6, v13, v11
	s_and_not1_b32 s7, s7, exec_lo
	s_and_b32 s6, vcc_lo, s6
	s_delay_alu instid0(SALU_CYCLE_1) | instskip(NEXT) | instid1(SALU_CYCLE_1)
	s_and_b32 s6, s6, exec_lo
	s_or_b32 s7, s7, s6
.LBB1_146:                              ;   in Loop: Header=BB1_6 Depth=1
	s_or_b32 exec_lo, exec_lo, s47
	s_and_saveexec_b32 s6, s7
	s_cbranch_execz .LBB1_148
; %bb.147:                              ;   in Loop: Header=BB1_6 Depth=1
	s_wait_dscnt 0x0
	v_dual_mov_b32 v12, v10 :: v_dual_mov_b32 v13, v11
	ds_store_b32 v18, v10
	ds_store_b32 v2, v11
.LBB1_148:                              ;   in Loop: Header=BB1_6 Depth=1
	s_or_b32 exec_lo, exec_lo, s6
	ds_load_b32 v10, v18 offset:64
	s_wait_dscnt 0x1
	ds_load_b32 v11, v2 offset:64
	s_mov_b32 s47, exec_lo
	s_wait_dscnt 0x1
	v_cmp_lt_f32_e64 s7, v12, v10
	v_cmpx_nlt_f32_e32 v12, v10
	s_cbranch_execz .LBB1_150
; %bb.149:                              ;   in Loop: Header=BB1_6 Depth=1
	v_cmp_eq_f32_e32 vcc_lo, v12, v10
	s_wait_dscnt 0x0
	v_cmp_gt_i32_e64 s6, v13, v11
	s_and_not1_b32 s7, s7, exec_lo
	s_and_b32 s6, vcc_lo, s6
	s_delay_alu instid0(SALU_CYCLE_1) | instskip(NEXT) | instid1(SALU_CYCLE_1)
	s_and_b32 s6, s6, exec_lo
	s_or_b32 s7, s7, s6
.LBB1_150:                              ;   in Loop: Header=BB1_6 Depth=1
	s_or_b32 exec_lo, exec_lo, s47
	s_and_saveexec_b32 s6, s7
	s_cbranch_execz .LBB1_152
; %bb.151:                              ;   in Loop: Header=BB1_6 Depth=1
	s_wait_dscnt 0x0
	v_dual_mov_b32 v12, v10 :: v_dual_mov_b32 v13, v11
	ds_store_b32 v18, v10
	ds_store_b32 v2, v11
.LBB1_152:                              ;   in Loop: Header=BB1_6 Depth=1
	s_or_b32 exec_lo, exec_lo, s6
	ds_load_b32 v10, v18 offset:32
	s_wait_dscnt 0x1
	;; [unrolled: 28-line block ×5, first 2 shown]
	ds_load_b32 v11, v2 offset:4
	s_wait_dscnt 0x1
	v_cmp_eq_f32_e32 vcc_lo, v12, v10
	s_wait_dscnt 0x0
	v_cmp_gt_i32_e64 s6, v13, v11
	v_cmp_lt_f32_e64 s7, v12, v10
	s_and_b32 s6, vcc_lo, s6
	s_delay_alu instid0(SALU_CYCLE_1) | instskip(NEXT) | instid1(SALU_CYCLE_1)
	s_or_b32 s6, s7, s6
	s_and_b32 exec_lo, exec_lo, s6
	s_cbranch_execz .LBB1_166
; %bb.165:                              ;   in Loop: Header=BB1_6 Depth=1
	ds_store_b32 v18, v10
	ds_store_b32 v2, v11
.LBB1_166:                              ;   in Loop: Header=BB1_6 Depth=1
	s_or_b32 exec_lo, exec_lo, s45
.LBB1_167:                              ;   in Loop: Header=BB1_6 Depth=1
	s_and_saveexec_b32 s6, s2
	s_cbranch_execz .LBB1_169
; %bb.168:                              ;   in Loop: Header=BB1_6 Depth=1
	ds_load_b32 v10, v3 offset:2064
	ds_load_b32 v11, v3 offset:1024
	s_wait_dscnt 0x0
	v_cmp_lt_f32_e32 vcc_lo, v10, v11
	v_cndmask_b32_e32 v10, v10, v11, vcc_lo
	ds_store_b32 v3, v10 offset:2064
.LBB1_169:                              ;   in Loop: Header=BB1_6 Depth=1
	s_or_b32 exec_lo, exec_lo, s6
.LBB1_170:                              ;   in Loop: Header=BB1_6 Depth=1
	s_wait_dscnt 0x0
	s_barrier_signal -1
	s_barrier_wait -1
	ds_load_b64 v[12:13], v3 offset:2056
	ds_load_b32 v10, v3 offset:2064
	s_wait_dscnt 0x0
	v_div_scale_f32 v11, null, v10, v10, v13
	s_delay_alu instid0(VALU_DEP_1)
	v_rcp_f32_e32 v14, v11
	v_nop
	v_xor_b32_e32 v11, 0x80000000, v11
	s_delay_alu instid0(TRANS32_DEP_1) | instid1(VALU_DEP_1)
	v_fma_f32 v15, v11, v14, 1.0
	s_delay_alu instid0(VALU_DEP_1) | instskip(SKIP_1) | instid1(VALU_DEP_1)
	v_fmac_f32_e32 v14, v15, v14
	v_div_scale_f32 v15, vcc_lo, v13, v10, v13
	v_mul_f32_e32 v16, v15, v14
	s_delay_alu instid0(VALU_DEP_1) | instskip(NEXT) | instid1(VALU_DEP_1)
	v_fma_f32 v17, v11, v16, v15
	v_fmac_f32_e32 v16, v17, v14
	s_delay_alu instid0(VALU_DEP_1) | instskip(NEXT) | instid1(VALU_DEP_1)
	v_fmac_f32_e32 v15, v11, v16
	v_div_fmas_f32 v11, v15, v14, v16
	v_mul_f32_e32 v14, 0x3f23f07b, v13
	s_delay_alu instid0(VALU_DEP_2) | instskip(NEXT) | instid1(VALU_DEP_1)
	v_div_fixup_f32 v11, v11, v10, v13
	v_mul_f32_e32 v11, v14, v11
	s_delay_alu instid0(VALU_DEP_1)
	v_cmp_ge_f32_e32 vcc_lo, v12, v11
	s_cbranch_vccnz .LBB1_176
; %bb.171:                              ;   in Loop: Header=BB1_6 Depth=1
	ds_load_b32 v11, v3 offset:2048
	v_mul_f32_e32 v10, 0x3f23f07b, v10
	s_wait_dscnt 0x0
	v_add_nc_u32_e32 v12, s46, v11
	v_readfirstlane_b32 s47, v11
	global_load_b32 v12, v12, s[36:37] scale_offset
	s_wait_loadcnt 0x0
	v_and_b32_e32 v12, 0x7fffffff, v12
	s_delay_alu instid0(VALU_DEP_1)
	v_cmp_nge_f32_e32 vcc_lo, v12, v10
	s_cbranch_vccnz .LBB1_217
; %bb.172:                              ;   in Loop: Header=BB1_6 Depth=1
	s_and_saveexec_b32 s6, s5
	s_cbranch_execz .LBB1_175
; %bb.173:                              ;   in Loop: Header=BB1_6 Depth=1
	v_dual_add_nc_u32 v10, s44, v0 :: v_dual_add_nc_u32 v12, s46, v0
	v_mov_b32_e32 v14, v0
	s_mov_b32 s5, 0
	s_delay_alu instid0(VALU_DEP_2) | instskip(NEXT) | instid1(VALU_DEP_1)
	v_dual_ashrrev_i32 v11, 31, v10 :: v_dual_ashrrev_i32 v13, 31, v12
	v_lshl_add_u64 v[10:11], v[10:11], 2, s[36:37]
	s_delay_alu instid0(VALU_DEP_2)
	v_lshl_add_u64 v[12:13], v[12:13], 2, s[36:37]
.LBB1_174:                              ;   Parent Loop BB1_6 Depth=1
                                        ; =>  This Inner Loop Header: Depth=2
	global_load_b32 v15, v[12:13], off
	v_add_nc_u32_e32 v14, 0x100, v14
	s_wait_xcnt 0x0
	v_add_nc_u64_e32 v[12:13], 0x400, v[12:13]
	s_delay_alu instid0(VALU_DEP_2)
	v_cmp_lt_i32_e32 vcc_lo, s34, v14
	s_or_b32 s5, vcc_lo, s5
	s_wait_loadcnt 0x0
	global_store_b32 v[10:11], v15, off
	s_wait_xcnt 0x0
	v_add_nc_u64_e32 v[10:11], 0x400, v[10:11]
	s_and_not1_b32 exec_lo, exec_lo, s5
	s_cbranch_execnz .LBB1_174
.LBB1_175:                              ;   in Loop: Header=BB1_6 Depth=1
	s_or_b32 exec_lo, exec_lo, s6
	s_mov_b32 s5, -1
	s_mov_b32 s45, -1
	s_wait_storecnt 0x0
	s_barrier_signal -1
	s_barrier_wait -1
	s_add_co_i32 s6, s45, s34
	s_delay_alu instid0(SALU_CYCLE_1) | instskip(NEXT) | instid1(SALU_CYCLE_1)
	s_add_co_i32 s46, s6, 1
	s_cmp_eq_u32 s47, s46
	s_cbranch_scc0 .LBB1_177
	s_branch .LBB1_192
.LBB1_176:                              ;   in Loop: Header=BB1_6 Depth=1
	s_mov_b32 s5, -1
	s_mov_b32 s45, -1
	s_mov_b32 s47, s34
	s_add_co_i32 s6, s45, s34
	s_delay_alu instid0(SALU_CYCLE_1) | instskip(NEXT) | instid1(SALU_CYCLE_1)
	s_add_co_i32 s46, s6, 1
	s_cmp_eq_u32 s47, s46
	s_cbranch_scc1 .LBB1_192
.LBB1_177:                              ;   in Loop: Header=BB1_6 Depth=1
	s_and_saveexec_b32 s7, s2
	s_cbranch_execz .LBB1_179
; %bb.178:                              ;   in Loop: Header=BB1_6 Depth=1
	s_mul_i32 s48, s46, s51
	s_delay_alu instid0(SALU_CYCLE_1) | instskip(SKIP_1) | instid1(SALU_CYCLE_1)
	v_mov_b32_e32 v10, s48
	s_mul_i32 s48, s47, s51
	v_mov_b32_e32 v11, s48
	global_load_b32 v10, v10, s[20:21] scale_offset
	s_wait_loadcnt 0x0
	global_store_b32 v11, v10, s[20:21] scale_offset
.LBB1_179:                              ;   in Loop: Header=BB1_6 Depth=1
	s_wait_xcnt 0x0
	s_or_b32 exec_lo, exec_lo, s7
	s_sub_co_i32 s7, s6, s47
	s_mov_b32 s48, exec_lo
	v_cmpx_gt_i32_e64 s7, v0
	s_cbranch_execz .LBB1_182
; %bb.180:                              ;   in Loop: Header=BB1_6 Depth=1
	v_dual_mov_b32 v11, v0 :: v_dual_add_nc_u32 v10, s47, v1
	s_mul_i32 s49, s46, s17
	s_mov_b32 s57, 0
	s_add_co_i32 s49, s47, s49
	s_delay_alu instid0(VALU_DEP_1)
	v_mad_u32 v10, s17, v10, s47
	s_add_co_i32 s49, s49, 1
.LBB1_181:                              ;   Parent Loop BB1_6 Depth=1
                                        ; =>  This Inner Loop Header: Depth=2
	s_delay_alu instid0(SALU_CYCLE_1)
	v_add_nc_u32_e32 v12, s49, v11
	v_add_nc_u32_e32 v11, 0x100, v11
	global_load_b32 v12, v12, s[20:21] scale_offset
	v_cmp_le_i32_e32 vcc_lo, s7, v11
	s_or_b32 s57, vcc_lo, s57
	s_wait_loadcnt 0x0
	global_store_b32 v10, v12, s[20:21] scale_offset
	s_wait_xcnt 0x0
	v_add_nc_u32_e32 v10, s53, v10
	s_and_not1_b32 exec_lo, exec_lo, s57
	s_cbranch_execnz .LBB1_181
.LBB1_182:                              ;   in Loop: Header=BB1_6 Depth=1
	s_or_b32 exec_lo, exec_lo, s48
	s_delay_alu instid0(SALU_CYCLE_1)
	s_mov_b32 s7, exec_lo
	v_cmpx_gt_i32_e64 s47, v0
	s_cbranch_execz .LBB1_185
; %bb.183:                              ;   in Loop: Header=BB1_6 Depth=1
	v_mad_u32 v10, s47, s17, v0
	v_mad_u32 v12, s46, s17, v0
	v_mov_b32_e32 v14, v0
	s_mov_b32 s48, 0
	s_delay_alu instid0(VALU_DEP_2) | instskip(NEXT) | instid1(VALU_DEP_1)
	v_dual_ashrrev_i32 v11, 31, v10 :: v_dual_ashrrev_i32 v13, 31, v12
	v_lshl_add_u64 v[10:11], v[10:11], 2, s[38:39]
	s_delay_alu instid0(VALU_DEP_2)
	v_lshl_add_u64 v[12:13], v[12:13], 2, s[38:39]
.LBB1_184:                              ;   Parent Loop BB1_6 Depth=1
                                        ; =>  This Inner Loop Header: Depth=2
	global_load_b32 v15, v[12:13], off
	v_add_nc_u32_e32 v14, 0x100, v14
	s_wait_xcnt 0x0
	v_add_nc_u64_e32 v[12:13], 0x400, v[12:13]
	s_delay_alu instid0(VALU_DEP_2)
	v_cmp_le_i32_e32 vcc_lo, s47, v14
	s_or_b32 s48, vcc_lo, s48
	s_wait_loadcnt 0x0
	global_store_b32 v[10:11], v15, off
	s_wait_xcnt 0x0
	v_add_nc_u64_e32 v[10:11], 0x400, v[10:11]
	s_and_not1_b32 exec_lo, exec_lo, s48
	s_cbranch_execnz .LBB1_184
.LBB1_185:                              ;   in Loop: Header=BB1_6 Depth=1
	s_or_b32 exec_lo, exec_lo, s7
	s_not_b32 s7, s34
	s_mov_b32 s49, exec_lo
	s_add_co_i32 s48, s18, s7
	s_wait_storecnt 0x0
	s_barrier_signal -1
	s_barrier_wait -1
	v_cmpx_gt_i32_e64 s48, v0
	s_cbranch_execz .LBB1_188
; %bb.186:                              ;   in Loop: Header=BB1_6 Depth=1
	v_dual_add_nc_u32 v10, s34, v1 :: v_dual_mov_b32 v12, v0
	s_ashr_i32 s7, s6, 31
	s_mov_b32 s57, 0
	s_delay_alu instid0(VALU_DEP_1)
	v_mul_lo_u32 v10, s17, v10
.LBB1_187:                              ;   Parent Loop BB1_6 Depth=1
                                        ; =>  This Inner Loop Header: Depth=2
	s_delay_alu instid0(VALU_DEP_1) | instskip(SKIP_1) | instid1(VALU_DEP_2)
	v_ashrrev_i32_e32 v11, 31, v10
	v_add_nc_u32_e32 v12, 0x100, v12
	v_add_nc_u64_e32 v[14:15], s[6:7], v[10:11]
	v_add_nc_u32_e32 v11, s47, v10
	s_delay_alu instid0(VALU_DEP_3) | instskip(SKIP_2) | instid1(VALU_DEP_4)
	v_cmp_le_i32_e32 vcc_lo, s48, v12
	v_add_nc_u32_e32 v10, s53, v10
	s_or_b32 s57, vcc_lo, s57
	v_lshl_add_u64 v[14:15], v[14:15], 2, s[20:21]
	s_clause 0x1
	global_load_b32 v13, v11, s[20:21] scale_offset
	global_load_b32 v16, v[14:15], off offset:4
	s_wait_loadcnt 0x1
	global_store_b32 v[14:15], v13, off offset:4
	s_wait_loadcnt 0x0
	global_store_b32 v11, v16, s[20:21] scale_offset
	s_wait_xcnt 0x0
	s_and_not1_b32 exec_lo, exec_lo, s57
	s_cbranch_execnz .LBB1_187
.LBB1_188:                              ;   in Loop: Header=BB1_6 Depth=1
	s_or_b32 exec_lo, exec_lo, s49
	s_sub_co_i32 s46, s18, s46
	s_mov_b32 s48, exec_lo
	v_cmpx_gt_i32_e64 s46, v0
	s_cbranch_execz .LBB1_191
; %bb.189:                              ;   in Loop: Header=BB1_6 Depth=1
	v_add3_u32 v10, s34, s45, v19
	v_mov_b32_e32 v12, v0
	s_ashr_i32 s7, s6, 31
	s_mov_b32 s45, 0
	s_delay_alu instid0(VALU_DEP_2)
	v_mul_lo_u32 v10, s18, v10
.LBB1_190:                              ;   Parent Loop BB1_6 Depth=1
                                        ; =>  This Inner Loop Header: Depth=2
	s_delay_alu instid0(VALU_DEP_1) | instskip(SKIP_1) | instid1(VALU_DEP_2)
	v_ashrrev_i32_e32 v11, 31, v10
	v_add_nc_u32_e32 v12, 0x100, v12
	v_add_nc_u64_e32 v[14:15], s[6:7], v[10:11]
	v_add_nc_u32_e32 v11, s47, v10
	s_delay_alu instid0(VALU_DEP_3) | instskip(SKIP_2) | instid1(VALU_DEP_4)
	v_cmp_le_i32_e32 vcc_lo, s46, v12
	v_add_nc_u32_e32 v10, s54, v10
	s_or_b32 s45, vcc_lo, s45
	v_lshl_add_u64 v[14:15], v[14:15], 2, s[36:37]
	s_clause 0x1
	global_load_b32 v13, v11, s[36:37] scale_offset
	global_load_b32 v16, v[14:15], off offset:4
	s_wait_loadcnt 0x1
	global_store_b32 v[14:15], v13, off offset:4
	s_wait_loadcnt 0x0
	global_store_b32 v11, v16, s[36:37] scale_offset
	s_wait_xcnt 0x0
	s_and_not1_b32 exec_lo, exec_lo, s45
	s_cbranch_execnz .LBB1_190
.LBB1_191:                              ;   in Loop: Header=BB1_6 Depth=1
	s_or_b32 exec_lo, exec_lo, s48
	s_wait_storecnt 0x0
	s_barrier_signal -1
	s_barrier_wait -1
.LBB1_192:                              ;   in Loop: Header=BB1_6 Depth=1
	s_xor_b32 s5, s5, -1
	s_mov_b32 s7, -1
	s_and_b32 vcc_lo, exec_lo, s5
	s_cbranch_vccz .LBB1_201
; %bb.193:                              ;   in Loop: Header=BB1_6 Depth=1
	s_cmp_lt_i32 s34, 2
	s_cbranch_scc1 .LBB1_198
; %bb.194:                              ;   in Loop: Header=BB1_6 Depth=1
	s_add_co_i32 s6, s34, -2
	s_mov_b32 s7, exec_lo
	v_cmpx_ge_i32_e64 s6, v0
	s_cbranch_execz .LBB1_197
; %bb.195:                              ;   in Loop: Header=BB1_6 Depth=1
	s_add_co_i32 s5, s56, -1
	s_ashr_i32 s45, s44, 31
	s_mul_i32 s60, s5, s18
	s_ashr_i32 s49, s34, 31
	s_mov_b32 s48, s34
	s_ashr_i32 s61, s60, 31
	s_add_nc_u64 s[58:59], s[44:45], s[48:49]
	s_add_co_i32 s5, s44, s34
	s_add_nc_u64 s[48:49], s[60:61], s[48:49]
	s_lshl_b64 s[58:59], s[58:59], 2
	v_mov_b32_e32 v10, s5
	s_lshl_b64 s[48:49], s[48:49], 2
	s_add_nc_u64 s[58:59], s[36:37], s[58:59]
	s_add_nc_u64 s[48:49], s[36:37], s[48:49]
	s_clause 0x2
	global_load_b32 v11, v3, s[58:59] offset:-4
	global_load_b32 v12, v3, s[48:49] offset:-4
	global_load_b32 v10, v10, s[36:37] scale_offset
	s_wait_loadcnt 0x1
	v_div_scale_f32 v14, null, v11, v11, v12
	s_wait_loadcnt 0x0
	v_div_scale_f32 v13, null, v11, v11, v10
	v_div_scale_f32 v21, vcc_lo, v10, v11, v10
	s_delay_alu instid0(VALU_DEP_3) | instskip(NEXT) | instid1(VALU_DEP_2)
	v_rcp_f32_e32 v16, v14
	v_rcp_f32_e32 v15, v13
	v_nop
	v_xor_b32_e32 v13, 0x80000000, v13
	v_xor_b32_e32 v14, 0x80000000, v14
	s_delay_alu instid0(TRANS32_DEP_1) | instid1(VALU_DEP_2)
	v_fma_f32 v17, v13, v15, 1.0
	s_delay_alu instid0(TRANS32_DEP_2) | instid1(VALU_DEP_2)
	v_fma_f32 v20, v14, v16, 1.0
	s_delay_alu instid0(VALU_DEP_2) | instskip(SKIP_1) | instid1(VALU_DEP_2)
	v_fmac_f32_e32 v15, v17, v15
	v_div_scale_f32 v17, s5, v12, v11, v12
	v_dual_fmac_f32 v16, v20, v16 :: v_dual_mul_f32 v20, v21, v15
	s_delay_alu instid0(VALU_DEP_1) | instskip(NEXT) | instid1(VALU_DEP_1)
	v_fma_f32 v23, v13, v20, v21
	v_dual_mul_f32 v22, v17, v16 :: v_dual_fmac_f32 v20, v23, v15
	s_delay_alu instid0(VALU_DEP_1) | instskip(NEXT) | instid1(VALU_DEP_2)
	v_fma_f32 v24, v14, v22, v17
	v_fmac_f32_e32 v21, v13, v20
	s_delay_alu instid0(VALU_DEP_2) | instskip(NEXT) | instid1(VALU_DEP_2)
	v_fmac_f32_e32 v22, v24, v16
	v_div_fmas_f32 v13, v21, v15, v20
	s_delay_alu instid0(VALU_DEP_2) | instskip(SKIP_2) | instid1(VALU_DEP_2)
	v_fmac_f32_e32 v17, v14, v22
	s_mov_b32 vcc_lo, s5
	s_add_co_i32 s5, s34, -1
	v_div_fixup_f32 v20, v13, v11, v10
	s_delay_alu instid0(VALU_DEP_2) | instskip(SKIP_2) | instid1(VALU_DEP_2)
	v_div_fmas_f32 v14, v17, v16, v22
	v_mad_u32 v16, s5, s17, v0
	s_mov_b32 s5, 0
	v_div_fixup_f32 v21, v14, v11, v12
	v_mad_u32 v14, s34, s17, v0
	s_delay_alu instid0(VALU_DEP_2) | instskip(NEXT) | instid1(VALU_DEP_1)
	v_fma_f32 v10, v20, v21, -1.0
	v_dual_mul_f32 v22, v11, v10 :: v_dual_ashrrev_i32 v17, 31, v16
	s_delay_alu instid0(VALU_DEP_1) | instskip(SKIP_1) | instid1(VALU_DEP_2)
	v_div_scale_f32 v10, null, v22, v22, 1.0
	v_div_scale_f32 v24, vcc_lo, 1.0, v22, 1.0
	v_rcp_f32_e32 v23, v10
	v_xor_b32_e32 v15, 0x80000000, v10
	s_delay_alu instid0(TRANS32_DEP_1) | instid1(VALU_DEP_1)
	v_fma_f32 v10, v15, v23, 1.0
	s_delay_alu instid0(VALU_DEP_1) | instskip(NEXT) | instid1(VALU_DEP_1)
	v_dual_fmac_f32 v23, v10, v23 :: v_dual_add_nc_u32 v10, s44, v0
	v_mul_f32_e32 v25, v24, v23
	s_delay_alu instid0(VALU_DEP_1) | instskip(NEXT) | instid1(VALU_DEP_1)
	v_dual_fma_f32 v11, v15, v25, v24 :: v_dual_add_nc_u32 v12, s60, v0
	v_dual_fmac_f32 v25, v11, v23 :: v_dual_ashrrev_i32 v11, 31, v10
	s_delay_alu instid0(VALU_DEP_1) | instskip(SKIP_1) | instid1(VALU_DEP_3)
	v_dual_fmac_f32 v24, v15, v25 :: v_dual_ashrrev_i32 v13, 31, v12
	v_ashrrev_i32_e32 v15, 31, v14
	v_lshl_add_u64 v[10:11], v[10:11], 2, s[36:37]
	s_delay_alu instid0(VALU_DEP_3) | instskip(NEXT) | instid1(VALU_DEP_4)
	v_lshl_add_u64 v[12:13], v[12:13], 2, s[36:37]
	v_div_fmas_f32 v23, v24, v23, v25
	s_delay_alu instid0(VALU_DEP_4) | instskip(NEXT) | instid1(VALU_DEP_2)
	v_lshl_add_u64 v[14:15], v[14:15], 2, s[38:39]
	v_div_fixup_f32 v22, v23, v22, 1.0
	v_mov_b32_e32 v23, v0
	v_lshl_add_u64 v[16:17], v[16:17], 2, s[38:39]
.LBB1_196:                              ;   Parent Loop BB1_6 Depth=1
                                        ; =>  This Inner Loop Header: Depth=2
	global_load_b32 v24, v[12:13], off
	global_load_b32 v25, v[10:11], off
	v_add_nc_u32_e32 v23, 0x100, v23
	s_delay_alu instid0(VALU_DEP_1) | instskip(SKIP_3) | instid1(VALU_DEP_1)
	v_cmp_lt_i32_e32 vcc_lo, s6, v23
	s_or_b32 s5, vcc_lo, s5
	s_wait_loadcnt 0x0
	v_fma_f32 v24, v20, v24, -v25
	v_mul_f32_e32 v24, v22, v24
	global_store_b32 v[16:17], v24, off
	global_load_b32 v24, v[10:11], off
	global_load_b32 v25, v[12:13], off
	v_add_nc_u64_e32 v[16:17], 0x400, v[16:17]
	s_wait_xcnt 0x1
	v_add_nc_u64_e32 v[10:11], 0x400, v[10:11]
	s_wait_xcnt 0x0
	v_add_nc_u64_e32 v[12:13], 0x400, v[12:13]
	s_wait_loadcnt 0x0
	v_fma_f32 v24, v21, v24, -v25
	s_delay_alu instid0(VALU_DEP_1)
	v_mul_f32_e32 v24, v22, v24
	global_store_b32 v[14:15], v24, off
	s_wait_xcnt 0x0
	v_add_nc_u64_e32 v[14:15], 0x400, v[14:15]
	s_and_not1_b32 exec_lo, exec_lo, s5
	s_cbranch_execnz .LBB1_196
.LBB1_197:                              ;   in Loop: Header=BB1_6 Depth=1
	s_or_b32 exec_lo, exec_lo, s7
.LBB1_198:                              ;   in Loop: Header=BB1_6 Depth=1
	s_and_saveexec_b32 s5, s2
	s_cbranch_execz .LBB1_200
; %bb.199:                              ;   in Loop: Header=BB1_6 Depth=1
	s_add_co_i32 s6, s56, -1
	s_ashr_i32 s49, s34, 31
	s_mul_i32 s6, s6, s18
	s_mov_b32 s48, s34
	s_ashr_i32 s7, s6, 31
	s_ashr_i32 s45, s44, 31
	s_add_nc_u64 s[6:7], s[6:7], s[48:49]
	s_delay_alu instid0(SALU_CYCLE_1) | instskip(NEXT) | instid1(SALU_CYCLE_1)
	s_lshl_b64 s[6:7], s[6:7], 2
	s_add_nc_u64 s[6:7], s[36:37], s[6:7]
	global_load_b32 v10, v3, s[6:7] offset:-4
	s_wait_xcnt 0x0
	s_add_co_i32 s6, s34, -1
	s_delay_alu instid0(SALU_CYCLE_1) | instskip(NEXT) | instid1(SALU_CYCLE_1)
	s_mul_i32 s6, s6, s51
	v_mov_b32_e32 v11, s6
	s_add_nc_u64 s[6:7], s[44:45], s[48:49]
	s_delay_alu instid0(SALU_CYCLE_1) | instskip(NEXT) | instid1(SALU_CYCLE_1)
	s_lshl_b64 s[6:7], s[6:7], 2
	s_add_nc_u64 s[6:7], s[36:37], s[6:7]
	s_wait_loadcnt 0x0
	global_store_b32 v11, v10, s[20:21] scale_offset
	global_load_b32 v10, v3, s[6:7] offset:-4
	s_wait_xcnt 0x0
	s_mul_i32 s6, s34, s17
	s_delay_alu instid0(SALU_CYCLE_1) | instskip(NEXT) | instid1(SALU_CYCLE_1)
	s_ashr_i32 s7, s6, 31
	s_add_nc_u64 s[48:49], s[48:49], s[6:7]
	s_add_co_i32 s7, s44, s34
	s_lshl_b64 s[48:49], s[48:49], 2
	v_mov_b32_e32 v11, s7
	s_add_nc_u64 s[48:49], s[20:21], s[48:49]
	s_add_co_i32 s6, s6, s34
	s_wait_loadcnt 0x0
	global_store_b32 v3, v10, s[48:49] offset:-4
	global_load_b32 v10, v11, s[36:37] scale_offset
	s_wait_xcnt 0x0
	v_mov_b32_e32 v11, s6
	s_wait_loadcnt 0x0
	global_store_b32 v11, v10, s[20:21] scale_offset
.LBB1_200:                              ;   in Loop: Header=BB1_6 Depth=1
	s_wait_xcnt 0x0
	s_or_b32 exec_lo, exec_lo, s5
	s_mov_b32 s7, 0
	s_wait_storecnt 0x0
	s_barrier_signal -1
	s_barrier_wait -1
.LBB1_201:                              ;   in Loop: Header=BB1_6 Depth=1
	s_mov_b32 s5, 0
	s_mov_b32 s6, -2
	s_and_b32 vcc_lo, exec_lo, s7
	s_mov_b32 s7, 0
	s_cbranch_vccz .LBB1_208
; %bb.202:                              ;   in Loop: Header=BB1_6 Depth=1
	s_add_co_i32 s6, s44, s34
	s_delay_alu instid0(SALU_CYCLE_1)
	v_mov_b32_e32 v10, s6
	global_load_b32 v14, v10, s[36:37] scale_offset
	s_wait_xcnt 0x0
	s_and_saveexec_b32 s6, s2
	s_cbranch_execz .LBB1_204
; %bb.203:                              ;   in Loop: Header=BB1_6 Depth=1
	s_mul_i32 s7, s34, s51
	s_delay_alu instid0(SALU_CYCLE_1)
	v_mov_b32_e32 v10, s7
	s_wait_loadcnt 0x0
	global_store_b32 v10, v14, s[20:21] scale_offset
.LBB1_204:                              ;   in Loop: Header=BB1_6 Depth=1
	s_wait_xcnt 0x0
	s_or_b32 exec_lo, exec_lo, s6
	s_and_saveexec_b32 s6, s4
	s_cbranch_execz .LBB1_207
; %bb.205:                              ;   in Loop: Header=BB1_6 Depth=1
	s_wait_loadcnt 0x0
	v_div_scale_f32 v10, null, v14, v14, 1.0
	v_div_scale_f32 v16, vcc_lo, 1.0, v14, 1.0
	v_mad_u32 v12, s34, s17, v0
	s_delay_alu instid0(VALU_DEP_3)
	v_rcp_f32_e32 v15, v10
	v_xor_b32_e32 v11, 0x80000000, v10
	s_mov_b32 s4, 0
	s_delay_alu instid0(TRANS32_DEP_1) | instid1(VALU_DEP_1)
	v_fma_f32 v10, v11, v15, 1.0
	s_delay_alu instid0(VALU_DEP_1) | instskip(NEXT) | instid1(VALU_DEP_1)
	v_dual_ashrrev_i32 v13, 31, v12 :: v_dual_fmac_f32 v15, v10, v15
	v_lshl_add_u64 v[12:13], v[12:13], 2, s[38:39]
	s_delay_alu instid0(VALU_DEP_2) | instskip(NEXT) | instid1(VALU_DEP_1)
	v_mul_f32_e32 v17, v16, v15
	v_fma_f32 v10, v11, v17, v16
	s_delay_alu instid0(VALU_DEP_1) | instskip(NEXT) | instid1(VALU_DEP_1)
	v_dual_fmac_f32 v17, v10, v15 :: v_dual_add_nc_u32 v10, s44, v0
	v_dual_fmac_f32 v16, v11, v17 :: v_dual_ashrrev_i32 v11, 31, v10
	s_delay_alu instid0(VALU_DEP_1) | instskip(NEXT) | instid1(VALU_DEP_2)
	v_div_fmas_f32 v15, v16, v15, v17
	v_lshl_add_u64 v[10:11], v[10:11], 2, s[36:37]
	s_delay_alu instid0(VALU_DEP_2)
	v_div_fixup_f32 v14, v15, v14, 1.0
	v_mov_b32_e32 v15, v0
.LBB1_206:                              ;   Parent Loop BB1_6 Depth=1
                                        ; =>  This Inner Loop Header: Depth=2
	global_load_b32 v16, v[10:11], off
	v_add_nc_u32_e32 v15, 0x100, v15
	s_wait_xcnt 0x0
	v_add_nc_u64_e32 v[10:11], 0x400, v[10:11]
	s_wait_loadcnt 0x0
	v_mul_f32_e32 v16, v14, v16
	v_cmp_le_i32_e32 vcc_lo, s34, v15
	global_store_b32 v[12:13], v16, off
	s_wait_xcnt 0x0
	v_add_nc_u64_e32 v[12:13], 0x400, v[12:13]
	s_or_b32 s4, vcc_lo, s4
	s_delay_alu instid0(SALU_CYCLE_1)
	s_and_not1_b32 exec_lo, exec_lo, s4
	s_cbranch_execnz .LBB1_206
.LBB1_207:                              ;   in Loop: Header=BB1_6 Depth=1
	s_or_b32 exec_lo, exec_lo, s6
	s_wait_loadcnt 0x0
	s_wait_storecnt 0x0
	s_barrier_signal -1
	s_barrier_wait -1
	s_mov_b32 s7, -1
	s_mov_b32 s6, -1
.LBB1_208:                              ;   in Loop: Header=BB1_6 Depth=1
	s_and_b32 vcc_lo, exec_lo, s5
	s_cbranch_vccz .LBB1_212
; %bb.209:                              ;   in Loop: Header=BB1_6 Depth=1
	ds_load_b32 v10, v3 offset:2052
	s_wait_dscnt 0x0
	v_readfirstlane_b32 s4, v10
	s_cmp_eq_u32 s4, 0
	s_cselect_b32 s4, -1, 0
	s_delay_alu instid0(SALU_CYCLE_1) | instskip(NEXT) | instid1(SALU_CYCLE_1)
	s_and_b32 s5, s2, s4
	s_and_saveexec_b32 s4, s5
; %bb.210:                              ;   in Loop: Header=BB1_6 Depth=1
	s_add_co_i32 s5, s34, 1
	s_delay_alu instid0(SALU_CYCLE_1)
	v_mov_b32_e32 v10, s5
	ds_store_b32 v3, v10 offset:2052
; %bb.211:                              ;   in Loop: Header=BB1_6 Depth=1
	s_or_b32 exec_lo, exec_lo, s4
	s_mov_b32 s6, -1
	s_mov_b32 s7, -1
	s_mov_b32 s47, s34
.LBB1_212:                              ;   in Loop: Header=BB1_6 Depth=1
	s_and_saveexec_b32 s44, s2
	s_cbranch_execz .LBB1_4
; %bb.213:                              ;   in Loop: Header=BB1_6 Depth=1
	s_lshl_b64 s[4:5], s[34:35], 2
	s_xor_b32 s7, s7, -1
	s_add_nc_u64 s[4:5], s[8:9], s[4:5]
	s_and_b32 vcc_lo, exec_lo, s7
	s_mov_b32 s7, -1
	s_cbranch_vccz .LBB1_215
; %bb.214:                              ;   in Loop: Header=BB1_6 Depth=1
	s_not_b32 s7, s47
	s_delay_alu instid0(SALU_CYCLE_1)
	v_dual_mov_b32 v10, s7 :: v_dual_mov_b32 v11, s7
	s_mov_b32 s7, 0
	global_store_b64 v3, v[10:11], s[4:5] offset:-4
.LBB1_215:                              ;   in Loop: Header=BB1_6 Depth=1
	s_and_not1_b32 vcc_lo, exec_lo, s7
	s_cbranch_vccnz .LBB1_4
; %bb.216:                              ;   in Loop: Header=BB1_6 Depth=1
	s_add_co_i32 s7, s47, 1
	s_wait_xcnt 0x0
	v_mov_b32_e32 v10, s7
	global_store_b32 v3, v10, s[4:5]
	s_branch .LBB1_4
.LBB1_217:                              ;   in Loop: Header=BB1_6 Depth=1
	s_mov_b32 s5, 0
	s_mov_b32 s45, -2
	s_delay_alu instid0(SALU_CYCLE_1) | instskip(NEXT) | instid1(SALU_CYCLE_1)
	s_add_co_i32 s6, s45, s34
	s_add_co_i32 s46, s6, 1
	s_delay_alu instid0(SALU_CYCLE_1)
	s_cmp_eq_u32 s47, s46
	s_cbranch_scc0 .LBB1_177
	s_branch .LBB1_192
.LBB1_218:
	s_add_co_i32 s1, s56, 1
.LBB1_219:
	s_and_saveexec_b32 s0, s2
	s_cbranch_execz .LBB1_221
; %bb.220:
	s_not_b32 s2, s34
	s_delay_alu instid0(SALU_CYCLE_1) | instskip(NEXT) | instid1(SALU_CYCLE_1)
	s_add_co_i32 s2, s18, s2
	v_dual_mov_b32 v3, 0 :: v_dual_mov_b32 v5, s2
	s_lshl_b64 s[2:3], s[30:31], 2
	s_delay_alu instid0(SALU_CYCLE_1)
	s_add_nc_u64 s[4:5], s[12:13], s[2:3]
	ds_load_b32 v4, v3 offset:2052
	s_add_nc_u64 s[2:3], s[10:11], s[2:3]
	global_store_b32 v3, v5, s[4:5]
	s_wait_dscnt 0x0
	global_store_b32 v3, v4, s[2:3]
.LBB1_221:
	s_wait_xcnt 0x0
	s_or_b32 exec_lo, exec_lo, s0
	s_abs_i32 s0, s19
	s_abs_i32 s4, s34
	s_cvt_f32_u32 s2, s0
	s_sub_co_i32 s3, 0, s0
	s_delay_alu instid0(SALU_CYCLE_2) | instskip(SKIP_1) | instid1(TRANS32_DEP_1)
	v_rcp_iflag_f32_e32 v3, s2
	v_nop
	v_readfirstlane_b32 s2, v3
	s_mul_f32 s2, s2, 0x4f7ffffe
	s_delay_alu instid0(SALU_CYCLE_3) | instskip(NEXT) | instid1(SALU_CYCLE_3)
	s_cvt_u32_f32 s2, s2
	s_mul_i32 s3, s3, s2
	s_delay_alu instid0(SALU_CYCLE_1) | instskip(NEXT) | instid1(SALU_CYCLE_1)
	s_mul_hi_u32 s3, s2, s3
	s_add_co_i32 s2, s2, s3
	s_ashr_i32 s3, s34, 31
	s_mul_hi_u32 s2, s4, s2
	s_delay_alu instid0(SALU_CYCLE_1) | instskip(NEXT) | instid1(SALU_CYCLE_1)
	s_mul_i32 s2, s2, s0
	s_sub_co_i32 s2, s4, s2
	s_delay_alu instid0(SALU_CYCLE_1) | instskip(SKIP_2) | instid1(SALU_CYCLE_1)
	s_sub_co_i32 s4, s2, s0
	s_cmp_ge_u32 s2, s0
	s_cselect_b32 s2, s4, s2
	s_sub_co_i32 s4, s2, s0
	s_cmp_ge_u32 s2, s0
	s_cselect_b32 s0, s4, s2
	s_add_co_i32 s30, s34, 1
	s_xor_b32 s0, s0, s3
	s_delay_alu instid0(SALU_CYCLE_1) | instskip(SKIP_2) | instid1(SALU_CYCLE_1)
	s_sub_co_i32 s0, s3, s0
	s_mov_b32 s3, 0
	s_add_co_i32 s0, s34, s0
	s_cmp_lt_i32 s0, 0
	s_cbranch_scc1 .LBB1_240
; %bb.222:
	s_not_b32 s2, s34
	s_mul_i32 s4, s30, s17
	s_mul_i32 s6, s1, s18
	s_add_co_i32 s31, s18, s2
	s_ashr_i32 s5, s4, 31
	s_ashr_i32 s7, s6, 31
	s_cmp_gt_i32 s31, 0
	v_mov_b32_e32 v3, 0
	s_cselect_b32 s33, -1, 0
	s_lshl_b64 s[10:11], s[28:29], 2
	s_lshl_b64 s[6:7], s[6:7], 2
	;; [unrolled: 1-line block ×3, first 2 shown]
	s_add_nc_u64 s[6:7], s[10:11], s[6:7]
	s_add_nc_u64 s[10:11], s[26:27], s[24:25]
	;; [unrolled: 1-line block ×4, first 2 shown]
	s_ashr_i32 s13, s18, 31
	s_add_nc_u64 s[10:11], s[14:15], s[10:11]
	s_mov_b32 s12, s18
	v_add_nc_u64_e32 v[4:5], s[10:11], v[2:3]
	s_ashr_i32 s15, s17, 31
	s_mov_b32 s14, s17
	s_add_nc_u64 s[6:7], s[22:23], s[6:7]
	s_lshl_b64 s[10:11], s[12:13], 2
	s_lshl_b64 s[12:13], s[14:15], 2
	s_branch .LBB1_224
.LBB1_223:                              ;   in Loop: Header=BB1_224 Depth=1
	s_or_b32 exec_lo, exec_lo, s24
	s_sub_co_i32 s0, s0, s19
	s_delay_alu instid0(SALU_CYCLE_1)
	s_cmp_gt_i32 s0, -1
	s_cbranch_scc0 .LBB1_240
.LBB1_224:                              ; =>This Loop Header: Depth=1
                                        ;     Child Loop BB1_227 Depth 2
                                        ;       Child Loop BB1_230 Depth 3
                                        ;         Child Loop BB1_232 Depth 4
                                        ;     Child Loop BB1_237 Depth 2
                                        ;       Child Loop BB1_239 Depth 3
	s_sub_co_i32 s2, s30, s0
	s_mov_b32 s1, s3
	s_min_i32 s2, s2, s19
	s_lshl_b64 s[22:23], s[0:1], 2
	s_cmp_lt_i32 s2, 1
	s_add_nc_u64 s[14:15], s[6:7], s[22:23]
	s_cbranch_scc1 .LBB1_233
; %bb.225:                              ;   in Loop: Header=BB1_224 Depth=1
	v_add_nc_u64_e32 v[6:7], s[22:23], v[4:5]
	s_add_co_i32 s1, s2, s0
	s_add_nc_u64 s[22:23], s[20:21], s[22:23]
	s_mov_b64 s[24:25], s[14:15]
	s_mov_b32 s34, s0
	s_branch .LBB1_227
.LBB1_226:                              ;   in Loop: Header=BB1_227 Depth=2
	s_or_b32 exec_lo, exec_lo, s36
	s_add_co_i32 s34, s34, 1
	s_add_nc_u64 s[24:25], s[24:25], 4
	s_cmp_lt_i32 s34, s1
	s_cbranch_scc0 .LBB1_233
.LBB1_227:                              ;   Parent Loop BB1_224 Depth=1
                                        ; =>  This Loop Header: Depth=2
                                        ;       Child Loop BB1_230 Depth 3
                                        ;         Child Loop BB1_232 Depth 4
	s_sub_co_i32 s35, s34, s0
	s_mov_b32 s36, exec_lo
	v_cmpx_ge_i32_e64 s35, v0
	s_cbranch_execz .LBB1_226
; %bb.228:                              ;   in Loop: Header=BB1_227 Depth=2
	s_mul_i32 s26, s34, s17
	v_mov_b64_e32 v[8:9], v[6:7]
	s_ashr_i32 s27, s26, 31
	v_mov_b32_e32 v2, v0
	s_lshl_b64 s[26:27], s[26:27], 2
	s_mov_b32 s37, 0
	s_add_nc_u64 s[26:27], s[22:23], s[26:27]
	s_branch .LBB1_230
.LBB1_229:                              ;   in Loop: Header=BB1_230 Depth=3
	global_load_b32 v10, v2, s[26:27] scale_offset
	v_add_nc_u64_e32 v[8:9], 0x400, v[8:9]
	s_wait_loadcnt 0x0
	v_sub_f32_e32 v10, v10, v12
	global_store_b32 v2, v10, s[26:27] scale_offset
	s_wait_xcnt 0x0
	v_add_nc_u32_e32 v2, 0x100, v2
	s_delay_alu instid0(VALU_DEP_1) | instskip(SKIP_1) | instid1(SALU_CYCLE_1)
	v_cmp_lt_i32_e32 vcc_lo, s35, v2
	s_or_b32 s37, vcc_lo, s37
	s_and_not1_b32 exec_lo, exec_lo, s37
	s_cbranch_execz .LBB1_226
.LBB1_230:                              ;   Parent Loop BB1_224 Depth=1
                                        ;     Parent Loop BB1_227 Depth=2
                                        ; =>    This Loop Header: Depth=3
                                        ;         Child Loop BB1_232 Depth 4
	v_mov_b32_e32 v12, 0
	s_and_not1_b32 vcc_lo, exec_lo, s33
	s_cbranch_vccnz .LBB1_229
; %bb.231:                              ;   in Loop: Header=BB1_230 Depth=3
	v_mov_b64_e32 v[10:11], v[8:9]
	s_mov_b64 s[28:29], s[24:25]
	s_mov_b32 s38, s31
.LBB1_232:                              ;   Parent Loop BB1_224 Depth=1
                                        ;     Parent Loop BB1_227 Depth=2
                                        ;       Parent Loop BB1_230 Depth=3
                                        ; =>      This Inner Loop Header: Depth=4
	global_load_b32 v13, v[10:11], off
	global_load_b32 v14, v3, s[28:29]
	s_wait_xcnt 0x1
	v_add_nc_u64_e32 v[10:11], s[12:13], v[10:11]
	s_add_co_i32 s38, s38, -1
	s_wait_xcnt 0x0
	s_add_nc_u64 s[28:29], s[28:29], s[10:11]
	s_cmp_eq_u32 s38, 0
	s_wait_loadcnt 0x0
	v_fmac_f32_e32 v12, v13, v14
	s_cbranch_scc0 .LBB1_232
	s_branch .LBB1_229
.LBB1_233:                              ;   in Loop: Header=BB1_224 Depth=1
	s_mul_i32 s1, s2, s0
	s_mov_b32 s24, exec_lo
	v_cmpx_gt_i32_e64 s1, v0
	s_cbranch_execz .LBB1_223
; %bb.234:                              ;   in Loop: Header=BB1_224 Depth=1
	s_cvt_f32_u32 s2, s0
	s_mul_i32 s22, s0, s17
	s_sub_co_i32 s25, 0, s0
	s_ashr_i32 s23, s22, 31
	v_rcp_iflag_f32_e32 v2, s2
	s_lshl_b64 s[22:23], s[22:23], 2
	s_delay_alu instid0(SALU_CYCLE_1) | instskip(SKIP_1) | instid1(TRANS32_DEP_1)
	s_add_nc_u64 s[22:23], s[20:21], s[22:23]
	v_nop
	v_readfirstlane_b32 s2, v2
	v_mov_b32_e32 v2, v0
	s_mul_f32 s2, s2, 0x4f7ffffe
	s_delay_alu instid0(SALU_CYCLE_3) | instskip(NEXT) | instid1(SALU_CYCLE_3)
	s_cvt_u32_f32 s2, s2
	s_mul_i32 s25, s25, s2
	s_delay_alu instid0(SALU_CYCLE_1)
	s_mul_hi_u32 s26, s2, s25
	s_mov_b32 s25, 0
	s_add_co_i32 s2, s2, s26
	s_branch .LBB1_237
.LBB1_235:                              ;   in Loop: Header=BB1_237 Depth=2
	v_mov_b32_e32 v11, 0
.LBB1_236:                              ;   in Loop: Header=BB1_237 Depth=2
	s_delay_alu instid0(VALU_DEP_2) | instskip(SKIP_3) | instid1(VALU_DEP_1)
	v_mad_u32 v6, v6, s17, v10
	global_load_b32 v7, v6, s[22:23] scale_offset
	s_wait_loadcnt 0x0
	v_dual_sub_f32 v7, v7, v11 :: v_dual_add_nc_u32 v2, 0x100, v2
	v_cmp_le_i32_e32 vcc_lo, s1, v2
	global_store_b32 v6, v7, s[22:23] scale_offset
	s_or_b32 s25, vcc_lo, s25
	s_wait_xcnt 0x0
	s_and_not1_b32 exec_lo, exec_lo, s25
	s_cbranch_execz .LBB1_223
.LBB1_237:                              ;   Parent Loop BB1_224 Depth=1
                                        ; =>  This Loop Header: Depth=2
                                        ;       Child Loop BB1_239 Depth 3
	v_mul_u64_e32 v[6:7], s[2:3], v[2:3]
	s_delay_alu instid0(VALU_DEP_1) | instskip(NEXT) | instid1(VALU_DEP_1)
	v_mul_lo_u32 v6, v7, s0
	v_dual_add_nc_u32 v8, 1, v7 :: v_dual_sub_nc_u32 v6, v2, v6
	s_delay_alu instid0(VALU_DEP_1) | instskip(SKIP_1) | instid1(VALU_DEP_2)
	v_subrev_nc_u32_e32 v9, s0, v6
	v_cmp_le_u32_e32 vcc_lo, s0, v6
	v_dual_cndmask_b32 v7, v7, v8 :: v_dual_cndmask_b32 v6, v6, v9
	s_delay_alu instid0(VALU_DEP_1) | instskip(NEXT) | instid1(VALU_DEP_2)
	v_add_nc_u32_e32 v8, 1, v7
	v_cmp_le_u32_e32 vcc_lo, s0, v6
	s_delay_alu instid0(VALU_DEP_2) | instskip(SKIP_1) | instid1(VALU_DEP_1)
	v_cndmask_b32_e32 v6, v7, v8, vcc_lo
	s_and_not1_b32 vcc_lo, exec_lo, s33
	v_mul_lo_u32 v7, v6, s0
	s_delay_alu instid0(VALU_DEP_1)
	v_sub_nc_u32_e32 v10, v2, v7
	s_cbranch_vccnz .LBB1_235
; %bb.238:                              ;   in Loop: Header=BB1_237 Depth=2
	v_dual_ashrrev_i32 v7, 31, v6 :: v_dual_mov_b32 v11, 0
	s_mov_b32 s26, s31
	s_delay_alu instid0(VALU_DEP_1)
	v_lshl_add_u64 v[8:9], v[6:7], 2, s[14:15]
	v_mov_b32_e32 v7, v10
.LBB1_239:                              ;   Parent Loop BB1_224 Depth=1
                                        ;     Parent Loop BB1_237 Depth=2
                                        ; =>    This Inner Loop Header: Depth=3
	global_load_b32 v12, v7, s[4:5] scale_offset
	global_load_b32 v13, v[8:9], off
	s_wait_xcnt 0x0
	v_add_nc_u64_e32 v[8:9], s[10:11], v[8:9]
	v_add_nc_u32_e32 v7, s17, v7
	s_add_co_i32 s26, s26, -1
	s_delay_alu instid0(SALU_CYCLE_1)
	s_cmp_eq_u32 s26, 0
	s_wait_loadcnt 0x0
	v_fmac_f32_e32 v11, v12, v13
	s_cbranch_scc0 .LBB1_239
	s_branch .LBB1_236
.LBB1_240:
	s_cmp_ge_i32 s30, s16
	s_wait_storecnt_dscnt 0x0
	s_barrier_signal -1
	s_barrier_wait -1
	s_cbranch_scc1 .LBB1_248
; %bb.241:
	s_lshl_b32 s0, s17, 8
	s_branch .LBB1_244
.LBB1_242:                              ;   in Loop: Header=BB1_244 Depth=1
	s_or_b32 exec_lo, exec_lo, s4
	s_wait_storecnt 0x0
	s_barrier_signal -1
	s_barrier_wait -1
.LBB1_243:                              ;   in Loop: Header=BB1_244 Depth=1
	s_cmp_lt_i32 s1, s16
	s_mov_b32 s30, s1
	s_cbranch_scc0 .LBB1_248
.LBB1_244:                              ; =>This Loop Header: Depth=1
                                        ;     Child Loop BB1_247 Depth 2
	v_mov_b32_e32 v2, s30
	global_load_b32 v2, v2, s[8:9] scale_offset
	s_wait_loadcnt 0x0
	v_readfirstlane_b32 s1, v2
	s_not_b32 s2, s1
	s_add_co_i32 s3, s1, -1
	s_cmp_lt_i32 s1, 0
	s_cselect_b32 s2, s2, s3
	s_lshr_b32 s5, s1, 31
	s_delay_alu instid0(SALU_CYCLE_1) | instskip(NEXT) | instid1(SALU_CYCLE_1)
	s_add_co_i32 s1, s30, s5
	s_add_co_i32 s1, s1, 1
	s_cmp_eq_u32 s2, s30
	s_cselect_b32 s3, -1, 0
	s_cmp_le_i32 s18, s1
	s_cselect_b32 s4, -1, 0
	s_delay_alu instid0(SALU_CYCLE_1) | instskip(NEXT) | instid1(SALU_CYCLE_1)
	s_or_b32 s3, s3, s4
	s_and_b32 vcc_lo, exec_lo, s3
	s_cbranch_vccnz .LBB1_243
; %bb.245:                              ;   in Loop: Header=BB1_244 Depth=1
	s_sub_co_i32 s3, s18, s1
	s_mov_b32 s4, exec_lo
	v_cmpx_gt_i32_e64 s3, v0
	s_cbranch_execz .LBB1_242
; %bb.246:                              ;   in Loop: Header=BB1_244 Depth=1
	v_add3_u32 v2, s5, s30, v1
	v_mov_b32_e32 v3, v0
	s_mov_b32 s5, 0
	s_delay_alu instid0(VALU_DEP_2)
	v_mul_lo_u32 v2, s17, v2
.LBB1_247:                              ;   Parent Loop BB1_244 Depth=1
                                        ; =>  This Inner Loop Header: Depth=2
	s_delay_alu instid0(VALU_DEP_1) | instskip(NEXT) | instid1(VALU_DEP_3)
	v_dual_add_nc_u32 v4, s30, v2 :: v_dual_add_nc_u32 v5, s2, v2
	v_add_nc_u32_e32 v3, 0x100, v3
	v_add_nc_u32_e32 v2, s0, v2
	s_clause 0x1
	global_load_b32 v6, v4, s[20:21] scale_offset
	global_load_b32 v7, v5, s[20:21] scale_offset
	s_wait_loadcnt 0x1
	global_store_b32 v5, v6, s[20:21] scale_offset
	s_wait_loadcnt 0x0
	global_store_b32 v4, v7, s[20:21] scale_offset
	v_cmp_le_i32_e32 vcc_lo, s3, v3
	s_or_b32 s5, vcc_lo, s5
	s_wait_xcnt 0x0
	s_and_not1_b32 exec_lo, exec_lo, s5
	s_cbranch_execnz .LBB1_247
	s_branch .LBB1_242
.LBB1_248:
	s_endpgm
	.section	.rodata,"a",@progbits
	.p2align	6, 0x0
	.amdhsa_kernel _ZN9rocsolver6v33100L18lasyf_kernel_upperIfPfEEviiPiT0_iilS3_lS3_PT_
		.amdhsa_group_segment_fixed_size 2068
		.amdhsa_private_segment_fixed_size 0
		.amdhsa_kernarg_size 72
		.amdhsa_user_sgpr_count 2
		.amdhsa_user_sgpr_dispatch_ptr 0
		.amdhsa_user_sgpr_queue_ptr 0
		.amdhsa_user_sgpr_kernarg_segment_ptr 1
		.amdhsa_user_sgpr_dispatch_id 0
		.amdhsa_user_sgpr_kernarg_preload_length 0
		.amdhsa_user_sgpr_kernarg_preload_offset 0
		.amdhsa_user_sgpr_private_segment_size 0
		.amdhsa_wavefront_size32 1
		.amdhsa_uses_dynamic_stack 0
		.amdhsa_enable_private_segment 0
		.amdhsa_system_sgpr_workgroup_id_x 1
		.amdhsa_system_sgpr_workgroup_id_y 1
		.amdhsa_system_sgpr_workgroup_id_z 0
		.amdhsa_system_sgpr_workgroup_info 0
		.amdhsa_system_vgpr_workitem_id 0
		.amdhsa_next_free_vgpr 26
		.amdhsa_next_free_sgpr 62
		.amdhsa_named_barrier_count 0
		.amdhsa_reserve_vcc 1
		.amdhsa_float_round_mode_32 0
		.amdhsa_float_round_mode_16_64 0
		.amdhsa_float_denorm_mode_32 3
		.amdhsa_float_denorm_mode_16_64 3
		.amdhsa_fp16_overflow 0
		.amdhsa_memory_ordered 1
		.amdhsa_forward_progress 1
		.amdhsa_inst_pref_size 76
		.amdhsa_round_robin_scheduling 0
		.amdhsa_exception_fp_ieee_invalid_op 0
		.amdhsa_exception_fp_denorm_src 0
		.amdhsa_exception_fp_ieee_div_zero 0
		.amdhsa_exception_fp_ieee_overflow 0
		.amdhsa_exception_fp_ieee_underflow 0
		.amdhsa_exception_fp_ieee_inexact 0
		.amdhsa_exception_int_div_zero 0
	.end_amdhsa_kernel
	.section	.text._ZN9rocsolver6v33100L18lasyf_kernel_upperIfPfEEviiPiT0_iilS3_lS3_PT_,"axG",@progbits,_ZN9rocsolver6v33100L18lasyf_kernel_upperIfPfEEviiPiT0_iilS3_lS3_PT_,comdat
.Lfunc_end1:
	.size	_ZN9rocsolver6v33100L18lasyf_kernel_upperIfPfEEviiPiT0_iilS3_lS3_PT_, .Lfunc_end1-_ZN9rocsolver6v33100L18lasyf_kernel_upperIfPfEEviiPiT0_iilS3_lS3_PT_
                                        ; -- End function
	.set _ZN9rocsolver6v33100L18lasyf_kernel_upperIfPfEEviiPiT0_iilS3_lS3_PT_.num_vgpr, 26
	.set _ZN9rocsolver6v33100L18lasyf_kernel_upperIfPfEEviiPiT0_iilS3_lS3_PT_.num_agpr, 0
	.set _ZN9rocsolver6v33100L18lasyf_kernel_upperIfPfEEviiPiT0_iilS3_lS3_PT_.numbered_sgpr, 62
	.set _ZN9rocsolver6v33100L18lasyf_kernel_upperIfPfEEviiPiT0_iilS3_lS3_PT_.num_named_barrier, 0
	.set _ZN9rocsolver6v33100L18lasyf_kernel_upperIfPfEEviiPiT0_iilS3_lS3_PT_.private_seg_size, 0
	.set _ZN9rocsolver6v33100L18lasyf_kernel_upperIfPfEEviiPiT0_iilS3_lS3_PT_.uses_vcc, 1
	.set _ZN9rocsolver6v33100L18lasyf_kernel_upperIfPfEEviiPiT0_iilS3_lS3_PT_.uses_flat_scratch, 0
	.set _ZN9rocsolver6v33100L18lasyf_kernel_upperIfPfEEviiPiT0_iilS3_lS3_PT_.has_dyn_sized_stack, 0
	.set _ZN9rocsolver6v33100L18lasyf_kernel_upperIfPfEEviiPiT0_iilS3_lS3_PT_.has_recursion, 0
	.set _ZN9rocsolver6v33100L18lasyf_kernel_upperIfPfEEviiPiT0_iilS3_lS3_PT_.has_indirect_call, 0
	.section	.AMDGPU.csdata,"",@progbits
; Kernel info:
; codeLenInByte = 9604
; TotalNumSgprs: 64
; NumVgprs: 26
; ScratchSize: 0
; MemoryBound: 0
; FloatMode: 240
; IeeeMode: 1
; LDSByteSize: 2068 bytes/workgroup (compile time only)
; SGPRBlocks: 0
; VGPRBlocks: 1
; NumSGPRsForWavesPerEU: 64
; NumVGPRsForWavesPerEU: 26
; NamedBarCnt: 0
; Occupancy: 16
; WaveLimiterHint : 1
; COMPUTE_PGM_RSRC2:SCRATCH_EN: 0
; COMPUTE_PGM_RSRC2:USER_SGPR: 2
; COMPUTE_PGM_RSRC2:TRAP_HANDLER: 0
; COMPUTE_PGM_RSRC2:TGID_X_EN: 1
; COMPUTE_PGM_RSRC2:TGID_Y_EN: 1
; COMPUTE_PGM_RSRC2:TGID_Z_EN: 0
; COMPUTE_PGM_RSRC2:TIDIG_COMP_CNT: 0
	.section	.text._ZN9rocsolver6v33100L18lasyf_kernel_lowerIfPfEEviiPiT0_iilS3_lS3_PT_,"axG",@progbits,_ZN9rocsolver6v33100L18lasyf_kernel_lowerIfPfEEviiPiT0_iilS3_lS3_PT_,comdat
	.globl	_ZN9rocsolver6v33100L18lasyf_kernel_lowerIfPfEEviiPiT0_iilS3_lS3_PT_ ; -- Begin function _ZN9rocsolver6v33100L18lasyf_kernel_lowerIfPfEEviiPiT0_iilS3_lS3_PT_
	.p2align	8
	.type	_ZN9rocsolver6v33100L18lasyf_kernel_lowerIfPfEEviiPiT0_iilS3_lS3_PT_,@function
_ZN9rocsolver6v33100L18lasyf_kernel_lowerIfPfEEviiPiT0_iilS3_lS3_PT_: ; @_ZN9rocsolver6v33100L18lasyf_kernel_lowerIfPfEEviiPiT0_iilS3_lS3_PT_
; %bb.0:
	v_cmp_eq_u32_e64 s2, 0, v0
	s_and_saveexec_b32 s3, s2
; %bb.1:
	v_mov_b32_e32 v1, 0
	ds_store_b32 v1, v1 offset:2052
; %bb.2:
	s_or_b32 exec_lo, exec_lo, s3
	s_clause 0x4
	s_load_b64 s[18:19], s[0:1], 0x18
	s_load_b64 s[20:21], s[0:1], 0x0
	s_load_b256 s[4:11], s[0:1], 0x20
	s_load_b128 s[12:15], s[0:1], 0x8
	s_load_b64 s[24:25], s[0:1], 0x40
	s_wait_xcnt 0x0
	s_bfe_u32 s0, ttmp6, 0x40010
	s_bfe_u32 s1, ttmp6, 0x40004
	s_add_co_i32 s0, s0, 1
	s_getreg_b32 s3, hwreg(HW_REG_IB_STS2, 6, 4)
	s_mul_i32 s0, ttmp7, s0
	v_lshlrev_b32_e32 v4, 2, v0
	s_add_co_i32 s16, s1, s0
	s_wait_kmcnt 0x0
	s_ashr_i32 s1, s18, 31
	s_cmp_eq_u32 s3, 0
	v_mul_lo_u32 v1, v0, s19
	s_cselect_b32 s34, ttmp7, s16
	s_mov_b32 s0, s18
	s_ashr_i32 s35, s34, 31
	s_mul_i32 s3, s20, s34
	s_lshl_b64 s[26:27], s[0:1], 2
	s_mul_u64 s[0:1], s[4:5], s[34:35]
	s_mul_i32 s4, s3, s21
	s_mul_u64 s[8:9], s[8:9], s[34:35]
	s_lshl_b64 s[30:31], s[0:1], 2
	s_ashr_i32 s5, s4, 31
	s_lshl_b64 s[0:1], s[8:9], 2
	s_add_nc_u64 s[8:9], s[14:15], s[30:31]
	s_lshl_b64 s[28:29], s[4:5], 2
	s_cmp_lt_i32 s20, 1
	s_add_nc_u64 s[8:9], s[8:9], s[26:27]
	s_add_nc_u64 s[22:23], s[24:25], s[28:29]
	s_add_nc_u64 s[16:17], s[6:7], s[0:1]
	s_cbranch_scc1 .LBB2_248
; %bb.3:
	v_mul_lo_u32 v8, v0, s20
	v_dual_add_nc_u32 v35, 2, v0 :: v_dual_mov_b32 v7, 0
	s_add_nc_u64 s[36:37], s[24:25], s[28:29]
	s_add_nc_u64 s[4:5], s[30:31], s[26:27]
	s_add_co_i32 s18, s21, -1
	s_add_nc_u64 s[38:39], s[14:15], s[4:5]
	v_mov_b32_e32 v5, v7
	s_cmp_eq_u32 s21, s20
	s_mov_b32 s4, s19
	s_cselect_b32 s33, -1, 0
	s_delay_alu instid0(VALU_DEP_3)
	v_ashrrev_i32_e32 v9, 31, v8
	v_add_nc_u64_e32 v[10:11], s[36:37], v[4:5]
	v_add_nc_u64_e32 v[12:13], s[38:39], v[4:5]
	v_mul_lo_u32 v5, v0, s19
	s_ashr_i32 s5, s19, 31
	v_or_b32_e32 v34, 0x400, v4
	s_lshl_b64 s[44:45], s[4:5], 2
	s_lshl_b32 s4, s20, 8
	v_add_nc_u64_e32 v[14:15], 4, v[10:11]
	v_cmp_gt_u32_e64 s0, 0x80, v0
	v_cmp_gt_u32_e64 s1, 64, v0
	;; [unrolled: 1-line block ×3, first 2 shown]
	v_dual_add_nc_u32 v36, s19, v35 :: v_dual_mov_b32 v2, v7
	s_mov_b32 s41, 0
	s_mov_b32 s40, s20
	s_ashr_i32 s5, s4, 31
	s_add_co_i32 s48, s20, -1
	s_add_co_i32 s49, s19, 1
	s_add_co_i32 s50, s20, -2
	s_add_co_i32 s51, s20, 1
	s_lshl_b64 s[42:43], s[40:41], 2
	s_lshl_b32 s40, s19, 8
	s_lshl_b64 s[46:47], s[4:5], 2
                                        ; implicit-def: $sgpr52
	s_branch .LBB2_6
.LBB2_4:                                ;   in Loop: Header=BB2_6 Depth=1
	s_wait_xcnt 0x0
	s_or_b32 exec_lo, exec_lo, s4
	v_add_nc_u32_e32 v2, v6, v2
	s_and_not1_b32 s4, s52, exec_lo
	s_delay_alu instid0(VALU_DEP_1) | instskip(SKIP_1) | instid1(SALU_CYCLE_1)
	v_cmp_le_i32_e32 vcc_lo, s20, v2
	s_and_b32 s5, vcc_lo, exec_lo
	s_or_b32 s52, s4, s5
.LBB2_5:                                ;   in Loop: Header=BB2_6 Depth=1
	s_or_b32 exec_lo, exec_lo, s53
	s_delay_alu instid0(SALU_CYCLE_1) | instskip(NEXT) | instid1(SALU_CYCLE_1)
	s_and_b32 s4, exec_lo, s52
	s_or_b32 s41, s4, s41
	s_delay_alu instid0(SALU_CYCLE_1)
	s_and_not1_b32 exec_lo, exec_lo, s41
	s_cbranch_execz .LBB2_216
.LBB2_6:                                ; =>This Loop Header: Depth=1
                                        ;     Child Loop BB2_11 Depth 2
                                        ;     Child Loop BB2_16 Depth 2
                                        ;       Child Loop BB2_18 Depth 3
                                        ;     Child Loop BB2_22 Depth 2
                                        ;     Child Loop BB2_66 Depth 2
	;; [unrolled: 1-line block ×4, first 2 shown]
                                        ;       Child Loop BB2_78 Depth 3
                                        ;     Child Loop BB2_83 Depth 2
                                        ;     Child Loop BB2_126 Depth 2
	;; [unrolled: 1-line block ×9, first 2 shown]
	v_cmp_gt_i32_e32 vcc_lo, s18, v2
	s_or_b32 s52, s52, exec_lo
	s_or_b32 s4, s33, vcc_lo
	s_delay_alu instid0(SALU_CYCLE_1)
	s_and_saveexec_b32 s53, s4
	s_cbranch_execz .LBB2_5
; %bb.7:                                ;   in Loop: Header=BB2_6 Depth=1
	v_mul_lo_u32 v18, v2, s20
	v_sub_nc_u32_e32 v38, s20, v2
	s_mov_b32 s4, exec_lo
	s_delay_alu instid0(VALU_DEP_1)
	v_cmp_lt_i32_e64 s5, v0, v38
	v_cmpx_ge_i32_e64 v0, v38
	s_xor_b32 s4, exec_lo, s4
; %bb.8:                                ;   in Loop: Header=BB2_6 Depth=1
	v_mul_lo_u32 v18, v2, s20
; %bb.9:                                ;   in Loop: Header=BB2_6 Depth=1
	s_and_not1_saveexec_b32 s4, s4
	s_cbranch_execz .LBB2_13
; %bb.10:                               ;   in Loop: Header=BB2_6 Depth=1
	v_mad_u32 v20, s49, v2, v0
	v_mad_u32 v6, s51, v2, v0
	s_mov_b32 s6, 0
	s_delay_alu instid0(VALU_DEP_2) | instskip(NEXT) | instid1(VALU_DEP_2)
	v_dual_mov_b32 v3, v0 :: v_dual_ashrrev_i32 v21, 31, v20
	v_lshl_add_u64 v[16:17], v[6:7], 2, s[36:37]
	s_delay_alu instid0(VALU_DEP_2)
	v_lshl_add_u64 v[20:21], v[20:21], 2, s[38:39]
.LBB2_11:                               ;   Parent Loop BB2_6 Depth=1
                                        ; =>  This Inner Loop Header: Depth=2
	global_load_b32 v6, v[20:21], off
	v_add_nc_u32_e32 v3, 0x100, v3
	s_wait_xcnt 0x0
	v_add_nc_u64_e32 v[20:21], 0x400, v[20:21]
	s_delay_alu instid0(VALU_DEP_2)
	v_cmp_ge_i32_e32 vcc_lo, v3, v38
	s_or_b32 s6, vcc_lo, s6
	s_wait_loadcnt 0x0
	global_store_b32 v[16:17], v6, off
	s_wait_xcnt 0x0
	v_add_nc_u64_e32 v[16:17], 0x400, v[16:17]
	s_and_not1_b32 exec_lo, exec_lo, s6
	s_cbranch_execnz .LBB2_11
; %bb.12:                               ;   in Loop: Header=BB2_6 Depth=1
	s_or_b32 exec_lo, exec_lo, s6
.LBB2_13:                               ;   in Loop: Header=BB2_6 Depth=1
	s_delay_alu instid0(SALU_CYCLE_1) | instskip(NEXT) | instid1(VALU_DEP_1)
	s_or_b32 exec_lo, exec_lo, s4
	v_dual_mov_b32 v3, v7 :: v_dual_ashrrev_i32 v19, 31, v18
	s_wait_storecnt_dscnt 0x0
	s_barrier_signal -1
	s_barrier_wait -1
	s_delay_alu instid0(VALU_DEP_1) | instskip(NEXT) | instid1(VALU_DEP_1)
	v_lshl_add_u64 v[20:21], v[2:3], 2, s[22:23]
	v_lshl_add_u64 v[16:17], v[18:19], 2, v[20:21]
	s_and_saveexec_b32 s6, s5
	s_cbranch_execz .LBB2_20
; %bb.14:                               ;   in Loop: Header=BB2_6 Depth=1
	v_lshl_add_u64 v[22:23], v[2:3], 2, v[12:13]
	v_mov_b32_e32 v6, v0
	s_mov_b32 s7, 0
	v_cmp_ne_u32_e32 vcc_lo, 0, v2
	s_branch .LBB2_16
.LBB2_15:                               ;   in Loop: Header=BB2_16 Depth=2
	s_or_b32 exec_lo, exec_lo, s54
	v_lshl_add_u64 v[24:25], v[6:7], 2, v[16:17]
	v_add_nc_u32_e32 v6, 0x100, v6
	v_add_nc_u64_e32 v[22:23], 0x400, v[22:23]
	global_load_b32 v26, v[24:25], off
	v_cmp_ge_i32_e64 s4, v6, v38
	s_or_b32 s7, s4, s7
	s_wait_loadcnt 0x0
	v_sub_f32_e32 v26, v26, v28
	global_store_b32 v[24:25], v26, off
	s_wait_xcnt 0x0
	s_and_not1_b32 exec_lo, exec_lo, s7
	s_cbranch_execz .LBB2_20
.LBB2_16:                               ;   Parent Loop BB2_6 Depth=1
                                        ; =>  This Loop Header: Depth=2
                                        ;       Child Loop BB2_18 Depth 3
	v_mov_b32_e32 v28, 0
	s_and_saveexec_b32 s54, vcc_lo
	s_cbranch_execz .LBB2_15
; %bb.17:                               ;   in Loop: Header=BB2_16 Depth=2
	v_mov_b64_e32 v[24:25], v[22:23]
	v_mov_b64_e32 v[26:27], v[20:21]
	v_dual_mov_b32 v28, 0 :: v_dual_mov_b32 v29, v2
	s_mov_b32 s55, 0
.LBB2_18:                               ;   Parent Loop BB2_6 Depth=1
                                        ;     Parent Loop BB2_16 Depth=2
                                        ; =>    This Inner Loop Header: Depth=3
	global_load_b32 v30, v[24:25], off
	global_load_b32 v31, v[26:27], off
	v_add_nc_u32_e32 v29, -1, v29
	s_wait_xcnt 0x0
	v_add_nc_u64_e32 v[26:27], s[42:43], v[26:27]
	v_add_nc_u64_e32 v[24:25], s[44:45], v[24:25]
	s_wait_loadcnt 0x0
	v_fmac_f32_e32 v28, v30, v31
	v_cmp_eq_u32_e64 s4, 0, v29
	s_or_b32 s55, s4, s55
	s_delay_alu instid0(SALU_CYCLE_1)
	s_and_not1_b32 exec_lo, exec_lo, s55
	s_cbranch_execnz .LBB2_18
; %bb.19:                               ;   in Loop: Header=BB2_16 Depth=2
	s_or_b32 exec_lo, exec_lo, s55
	s_branch .LBB2_15
.LBB2_20:                               ;   in Loop: Header=BB2_6 Depth=1
	s_or_b32 exec_lo, exec_lo, s6
	v_dual_mov_b32 v6, 0 :: v_dual_add_nc_u32 v37, -1, v38
	v_bfrev_b32_e32 v24, -2
	s_wait_storecnt 0x0
	s_barrier_signal -1
	s_delay_alu instid0(VALU_DEP_2)
	v_cmp_lt_i32_e64 s4, v0, v37
	s_barrier_wait -1
	s_and_saveexec_b32 s7, s4
	s_cbranch_execz .LBB2_24
; %bb.21:                               ;   in Loop: Header=BB2_6 Depth=1
	v_lshlrev_b64_e32 v[22:23], 2, v[2:3]
	v_dual_mov_b32 v6, 0 :: v_dual_mov_b32 v25, v0
	v_bfrev_b32_e32 v24, -2
	s_mov_b32 s54, 0
	s_delay_alu instid0(VALU_DEP_3) | instskip(NEXT) | instid1(VALU_DEP_1)
	v_lshl_add_u64 v[22:23], v[18:19], 2, v[22:23]
	v_add_nc_u64_e32 v[22:23], v[14:15], v[22:23]
.LBB2_22:                               ;   Parent Loop BB2_6 Depth=1
                                        ; =>  This Inner Loop Header: Depth=2
	global_load_b32 v26, v[22:23], off
	v_cmp_eq_u32_e32 vcc_lo, 0x7fffffff, v24
	v_add_nc_u32_e32 v27, 1, v25
	s_wait_xcnt 0x0
	v_add_nc_u64_e32 v[22:23], 0x400, v[22:23]
	s_wait_loadcnt 0x0
	v_cmp_lt_f32_e64 s55, v6, |v26|
	s_or_b32 vcc_lo, s55, vcc_lo
	v_dual_cndmask_b32 v24, v24, v27 :: v_dual_add_nc_u32 v25, 0x100, v25
	v_cndmask_b32_e64 v6, v6, |v26|, vcc_lo
	s_delay_alu instid0(VALU_DEP_2) | instskip(SKIP_1) | instid1(SALU_CYCLE_1)
	v_cmp_ge_i32_e64 s6, v25, v37
	s_or_b32 s54, s6, s54
	s_and_not1_b32 exec_lo, exec_lo, s54
	s_cbranch_execnz .LBB2_22
; %bb.23:                               ;   in Loop: Header=BB2_6 Depth=1
	s_or_b32 exec_lo, exec_lo, s54
.LBB2_24:                               ;   in Loop: Header=BB2_6 Depth=1
	s_delay_alu instid0(SALU_CYCLE_1) | instskip(NEXT) | instid1(SALU_CYCLE_1)
	s_or_b32 exec_lo, exec_lo, s7
	s_mov_b32 s54, exec_lo
	ds_store_b32 v34, v6
	ds_store_b32 v4, v24
	s_wait_dscnt 0x0
	s_barrier_signal -1
	s_barrier_wait -1
	v_cmpx_lt_i32_e32 2, v38
	s_cbranch_execz .LBB2_60
; %bb.25:                               ;   in Loop: Header=BB2_6 Depth=1
	s_and_saveexec_b32 s7, s0
	s_cbranch_execz .LBB2_31
; %bb.26:                               ;   in Loop: Header=BB2_6 Depth=1
	ds_load_b32 v22, v34 offset:512
	ds_load_b32 v23, v4 offset:512
	s_mov_b32 s56, exec_lo
	s_wait_dscnt 0x1
	v_cmp_lt_f32_e64 s55, v6, v22
	v_cmpx_nlt_f32_e32 v6, v22
	s_cbranch_execz .LBB2_28
; %bb.27:                               ;   in Loop: Header=BB2_6 Depth=1
	v_cmp_eq_f32_e32 vcc_lo, v6, v22
	s_wait_dscnt 0x0
	v_cmp_gt_i32_e64 s6, v24, v23
	s_and_not1_b32 s55, s55, exec_lo
	s_and_b32 s6, vcc_lo, s6
	s_delay_alu instid0(SALU_CYCLE_1) | instskip(NEXT) | instid1(SALU_CYCLE_1)
	s_and_b32 s6, s6, exec_lo
	s_or_b32 s55, s55, s6
.LBB2_28:                               ;   in Loop: Header=BB2_6 Depth=1
	s_or_b32 exec_lo, exec_lo, s56
	s_and_saveexec_b32 s6, s55
	s_cbranch_execz .LBB2_30
; %bb.29:                               ;   in Loop: Header=BB2_6 Depth=1
	s_wait_dscnt 0x0
	v_dual_mov_b32 v24, v23 :: v_dual_mov_b32 v6, v22
	ds_store_b32 v34, v22
	ds_store_b32 v4, v23
.LBB2_30:                               ;   in Loop: Header=BB2_6 Depth=1
	s_or_b32 exec_lo, exec_lo, s6
.LBB2_31:                               ;   in Loop: Header=BB2_6 Depth=1
	s_delay_alu instid0(SALU_CYCLE_1)
	s_or_b32 exec_lo, exec_lo, s7
	s_wait_dscnt 0x0
	s_barrier_signal -1
	s_barrier_wait -1
	s_and_saveexec_b32 s7, s1
	s_cbranch_execz .LBB2_37
; %bb.32:                               ;   in Loop: Header=BB2_6 Depth=1
	ds_load_b32 v22, v34 offset:256
	ds_load_b32 v23, v4 offset:256
	s_mov_b32 s56, exec_lo
	s_wait_dscnt 0x1
	v_cmp_lt_f32_e64 s55, v6, v22
	v_cmpx_nlt_f32_e32 v6, v22
	s_cbranch_execz .LBB2_34
; %bb.33:                               ;   in Loop: Header=BB2_6 Depth=1
	v_cmp_eq_f32_e32 vcc_lo, v6, v22
	s_wait_dscnt 0x0
	v_cmp_gt_i32_e64 s6, v24, v23
	s_and_not1_b32 s55, s55, exec_lo
	s_and_b32 s6, vcc_lo, s6
	s_delay_alu instid0(SALU_CYCLE_1) | instskip(NEXT) | instid1(SALU_CYCLE_1)
	s_and_b32 s6, s6, exec_lo
	s_or_b32 s55, s55, s6
.LBB2_34:                               ;   in Loop: Header=BB2_6 Depth=1
	s_or_b32 exec_lo, exec_lo, s56
	s_and_saveexec_b32 s6, s55
	s_cbranch_execz .LBB2_36
; %bb.35:                               ;   in Loop: Header=BB2_6 Depth=1
	s_wait_dscnt 0x0
	v_dual_mov_b32 v24, v23 :: v_dual_mov_b32 v6, v22
	ds_store_b32 v34, v22
	ds_store_b32 v4, v23
.LBB2_36:                               ;   in Loop: Header=BB2_6 Depth=1
	s_or_b32 exec_lo, exec_lo, s6
.LBB2_37:                               ;   in Loop: Header=BB2_6 Depth=1
	s_delay_alu instid0(SALU_CYCLE_1)
	s_or_b32 exec_lo, exec_lo, s7
	s_wait_dscnt 0x0
	s_barrier_signal -1
	s_barrier_wait -1
	s_and_b32 exec_lo, exec_lo, s3
	s_cbranch_execz .LBB2_60
; %bb.38:                               ;   in Loop: Header=BB2_6 Depth=1
	ds_load_b32 v22, v34 offset:128
	ds_load_b32 v23, v4 offset:128
	s_mov_b32 s55, exec_lo
	s_wait_dscnt 0x1
	v_cmp_lt_f32_e64 s7, v6, v22
	v_cmpx_nlt_f32_e32 v6, v22
	s_cbranch_execz .LBB2_40
; %bb.39:                               ;   in Loop: Header=BB2_6 Depth=1
	v_cmp_eq_f32_e32 vcc_lo, v6, v22
	s_wait_dscnt 0x0
	v_cmp_gt_i32_e64 s6, v24, v23
	s_and_not1_b32 s7, s7, exec_lo
	s_and_b32 s6, vcc_lo, s6
	s_delay_alu instid0(SALU_CYCLE_1) | instskip(NEXT) | instid1(SALU_CYCLE_1)
	s_and_b32 s6, s6, exec_lo
	s_or_b32 s7, s7, s6
.LBB2_40:                               ;   in Loop: Header=BB2_6 Depth=1
	s_or_b32 exec_lo, exec_lo, s55
	s_and_saveexec_b32 s6, s7
	s_cbranch_execz .LBB2_42
; %bb.41:                               ;   in Loop: Header=BB2_6 Depth=1
	s_wait_dscnt 0x0
	v_dual_mov_b32 v6, v22 :: v_dual_mov_b32 v24, v23
	ds_store_b32 v34, v22
	ds_store_b32 v4, v23
.LBB2_42:                               ;   in Loop: Header=BB2_6 Depth=1
	s_or_b32 exec_lo, exec_lo, s6
	ds_load_b32 v22, v34 offset:64
	s_wait_dscnt 0x1
	ds_load_b32 v23, v4 offset:64
	s_mov_b32 s55, exec_lo
	s_wait_dscnt 0x1
	v_cmp_lt_f32_e64 s7, v6, v22
	v_cmpx_nlt_f32_e32 v6, v22
	s_cbranch_execz .LBB2_44
; %bb.43:                               ;   in Loop: Header=BB2_6 Depth=1
	v_cmp_eq_f32_e32 vcc_lo, v6, v22
	s_wait_dscnt 0x0
	v_cmp_gt_i32_e64 s6, v24, v23
	s_and_not1_b32 s7, s7, exec_lo
	s_and_b32 s6, vcc_lo, s6
	s_delay_alu instid0(SALU_CYCLE_1) | instskip(NEXT) | instid1(SALU_CYCLE_1)
	s_and_b32 s6, s6, exec_lo
	s_or_b32 s7, s7, s6
.LBB2_44:                               ;   in Loop: Header=BB2_6 Depth=1
	s_or_b32 exec_lo, exec_lo, s55
	s_and_saveexec_b32 s6, s7
	s_cbranch_execz .LBB2_46
; %bb.45:                               ;   in Loop: Header=BB2_6 Depth=1
	s_wait_dscnt 0x0
	v_dual_mov_b32 v6, v22 :: v_dual_mov_b32 v24, v23
	ds_store_b32 v34, v22
	ds_store_b32 v4, v23
.LBB2_46:                               ;   in Loop: Header=BB2_6 Depth=1
	s_or_b32 exec_lo, exec_lo, s6
	ds_load_b32 v22, v34 offset:32
	s_wait_dscnt 0x1
	;; [unrolled: 28-line block ×5, first 2 shown]
	ds_load_b32 v23, v4 offset:4
	s_wait_dscnt 0x1
	v_cmp_eq_f32_e32 vcc_lo, v6, v22
	s_wait_dscnt 0x0
	v_cmp_gt_i32_e64 s6, v24, v23
	v_cmp_lt_f32_e64 s7, v6, v22
	s_and_b32 s6, vcc_lo, s6
	s_delay_alu instid0(SALU_CYCLE_1) | instskip(NEXT) | instid1(SALU_CYCLE_1)
	s_or_b32 s6, s7, s6
	s_and_b32 exec_lo, exec_lo, s6
	s_cbranch_execz .LBB2_60
; %bb.59:                               ;   in Loop: Header=BB2_6 Depth=1
	ds_store_b32 v34, v22
	ds_store_b32 v4, v23
.LBB2_60:                               ;   in Loop: Header=BB2_6 Depth=1
	s_or_b32 exec_lo, exec_lo, s54
	s_and_saveexec_b32 s6, s2
	s_cbranch_execz .LBB2_62
; %bb.61:                               ;   in Loop: Header=BB2_6 Depth=1
	global_load_b32 v6, v[16:17], off
	ds_load_2addr_stride64_b32 v[22:23], v7 offset1:4
	s_wait_dscnt 0x0
	v_add_nc_u32_e32 v24, v22, v2
	s_wait_loadcnt 0x0
	v_and_b32_e32 v22, 0x7fffffff, v6
	ds_store_b32 v7, v24 offset:2048
	ds_store_b64 v7, v[22:23] offset:2056
.LBB2_62:                               ;   in Loop: Header=BB2_6 Depth=1
	s_or_b32 exec_lo, exec_lo, s6
	s_wait_dscnt 0x0
	s_barrier_signal -1
	s_barrier_wait -1
	ds_load_b64 v[22:23], v7 offset:2056
	v_add_nc_u32_e32 v39, 1, v2
	s_wait_dscnt 0x0
	v_readfirstlane_b32 s6, v22
	v_readfirstlane_b32 s7, v23
	s_cmp_lt_f32 s6, s7
	s_cselect_b32 s54, s7, s6
	s_delay_alu instid0(SALU_CYCLE_1)
	s_cmp_neq_f32 s54, 0
	s_cbranch_scc0 .LBB2_80
; %bb.63:                               ;   in Loop: Header=BB2_6 Depth=1
	s_mul_f32 s7, s7, 0x3f23f07b
	s_delay_alu instid0(SALU_CYCLE_3)
	s_cmp_ge_f32 s6, s7
	s_cbranch_scc1 .LBB2_175
; %bb.64:                               ;   in Loop: Header=BB2_6 Depth=1
	ds_load_b32 v24, v7 offset:2048
	s_mov_b32 s6, exec_lo
	s_wait_dscnt 0x0
	v_sub_nc_u32_e32 v25, v24, v2
	s_delay_alu instid0(VALU_DEP_1)
	v_cmpx_lt_i32_e64 v0, v25
	s_cbranch_execz .LBB2_67
; %bb.65:                               ;   in Loop: Header=BB2_6 Depth=1
	v_add_nc_u32_e32 v22, v0, v2
	s_mov_b32 s7, 0
	s_delay_alu instid0(VALU_DEP_1) | instskip(SKIP_1) | instid1(VALU_DEP_2)
	v_mad_u32 v6, v39, s20, v22
	v_mad_u32 v26, s19, v22, v24
	v_lshl_add_u64 v[22:23], v[6:7], 2, s[36:37]
	v_mov_b32_e32 v6, v0
.LBB2_66:                               ;   Parent Loop BB2_6 Depth=1
                                        ; =>  This Inner Loop Header: Depth=2
	global_load_b32 v27, v26, s[8:9] scale_offset
	v_add_nc_u32_e32 v6, 0x100, v6
	s_wait_xcnt 0x0
	v_add_nc_u32_e32 v26, s40, v26
	s_delay_alu instid0(VALU_DEP_2)
	v_cmp_ge_i32_e32 vcc_lo, v6, v25
	s_or_b32 s7, vcc_lo, s7
	s_wait_loadcnt 0x0
	global_store_b32 v[22:23], v27, off
	s_wait_xcnt 0x0
	v_add_nc_u64_e32 v[22:23], 0x400, v[22:23]
	s_and_not1_b32 exec_lo, exec_lo, s7
	s_cbranch_execnz .LBB2_66
.LBB2_67:                               ;   in Loop: Header=BB2_6 Depth=1
	s_or_b32 exec_lo, exec_lo, s6
	v_sub_nc_u32_e32 v6, s20, v24
	s_mov_b32 s6, exec_lo
                                        ; implicit-def: $vgpr22
	s_delay_alu instid0(VALU_DEP_1)
	v_cmpx_ge_i32_e64 v0, v6
	s_xor_b32 s6, exec_lo, s6
; %bb.68:                               ;   in Loop: Header=BB2_6 Depth=1
	v_mul_lo_u32 v22, v39, s20
                                        ; implicit-def: $vgpr6
                                        ; implicit-def: $vgpr24
; %bb.69:                               ;   in Loop: Header=BB2_6 Depth=1
	s_and_not1_saveexec_b32 s6, s6
	s_cbranch_execz .LBB2_73
; %bb.70:                               ;   in Loop: Header=BB2_6 Depth=1
	v_mul_lo_u32 v22, v39, s20
	v_mad_u32 v26, s49, v24, v0
	v_mov_b32_e32 v23, v0
	s_mov_b32 s7, 0
	s_delay_alu instid0(VALU_DEP_3) | instskip(NEXT) | instid1(VALU_DEP_1)
	v_add3_u32 v28, v0, v24, v22
	v_dual_ashrrev_i32 v27, 31, v26 :: v_dual_ashrrev_i32 v29, 31, v28
	s_delay_alu instid0(VALU_DEP_1) | instskip(NEXT) | instid1(VALU_DEP_2)
	v_lshl_add_u64 v[24:25], v[26:27], 2, s[38:39]
	v_lshl_add_u64 v[26:27], v[28:29], 2, s[36:37]
.LBB2_71:                               ;   Parent Loop BB2_6 Depth=1
                                        ; =>  This Inner Loop Header: Depth=2
	global_load_b32 v28, v[24:25], off
	v_add_nc_u32_e32 v23, 0x100, v23
	s_wait_xcnt 0x0
	v_add_nc_u64_e32 v[24:25], 0x400, v[24:25]
	s_delay_alu instid0(VALU_DEP_2)
	v_cmp_ge_i32_e32 vcc_lo, v23, v6
	s_or_b32 s7, vcc_lo, s7
	s_wait_loadcnt 0x0
	global_store_b32 v[26:27], v28, off
	s_wait_xcnt 0x0
	v_add_nc_u64_e32 v[26:27], 0x400, v[26:27]
	s_and_not1_b32 exec_lo, exec_lo, s7
	s_cbranch_execnz .LBB2_71
; %bb.72:                               ;   in Loop: Header=BB2_6 Depth=1
	s_or_b32 exec_lo, exec_lo, s7
.LBB2_73:                               ;   in Loop: Header=BB2_6 Depth=1
	s_delay_alu instid0(SALU_CYCLE_1) | instskip(NEXT) | instid1(VALU_DEP_1)
	s_or_b32 exec_lo, exec_lo, s6
	v_ashrrev_i32_e32 v23, 31, v22
	s_wait_storecnt 0x0
	s_barrier_signal -1
	s_barrier_wait -1
	s_and_saveexec_b32 s7, s5
	s_cbranch_execz .LBB2_81
; %bb.74:                               ;   in Loop: Header=BB2_6 Depth=1
	ds_load_b32 v24, v7 offset:2048
	v_lshl_add_u64 v[28:29], v[2:3], 2, v[12:13]
	s_mov_b32 s54, 0
	v_cmp_ne_u32_e32 vcc_lo, 0, v2
	s_wait_dscnt 0x0
	v_dual_mov_b32 v6, v0 :: v_dual_ashrrev_i32 v25, 31, v24
	s_delay_alu instid0(VALU_DEP_1) | instskip(SKIP_1) | instid1(VALU_DEP_2)
	v_lshlrev_b64_e32 v[26:27], 2, v[24:25]
	v_lshl_add_u64 v[24:25], v[22:23], 2, v[20:21]
	v_add_nc_u64_e32 v[26:27], s[22:23], v[26:27]
	s_branch .LBB2_76
.LBB2_75:                               ;   in Loop: Header=BB2_76 Depth=2
	s_or_b32 exec_lo, exec_lo, s55
	v_lshl_add_u64 v[30:31], v[6:7], 2, v[24:25]
	v_add_nc_u32_e32 v6, 0x100, v6
	v_add_nc_u64_e32 v[28:29], 0x400, v[28:29]
	global_load_b32 v32, v[30:31], off
	v_cmp_ge_i32_e64 s6, v6, v38
	s_or_b32 s54, s6, s54
	s_wait_loadcnt 0x0
	v_sub_f32_e32 v32, v32, v40
	global_store_b32 v[30:31], v32, off
	s_wait_xcnt 0x0
	s_and_not1_b32 exec_lo, exec_lo, s54
	s_cbranch_execz .LBB2_81
.LBB2_76:                               ;   Parent Loop BB2_6 Depth=1
                                        ; =>  This Loop Header: Depth=2
                                        ;       Child Loop BB2_78 Depth 3
	v_mov_b32_e32 v40, 0
	s_and_saveexec_b32 s55, vcc_lo
	s_cbranch_execz .LBB2_75
; %bb.77:                               ;   in Loop: Header=BB2_76 Depth=2
	v_mov_b64_e32 v[30:31], v[28:29]
	s_delay_alu instid0(VALU_DEP_3)
	v_mov_b64_e32 v[32:33], v[26:27]
	v_dual_mov_b32 v40, 0 :: v_dual_mov_b32 v41, v2
	s_mov_b32 s56, 0
.LBB2_78:                               ;   Parent Loop BB2_6 Depth=1
                                        ;     Parent Loop BB2_76 Depth=2
                                        ; =>    This Inner Loop Header: Depth=3
	global_load_b32 v42, v[30:31], off
	global_load_b32 v43, v[32:33], off
	v_add_nc_u32_e32 v41, -1, v41
	s_wait_xcnt 0x0
	v_add_nc_u64_e32 v[32:33], s[42:43], v[32:33]
	v_add_nc_u64_e32 v[30:31], s[44:45], v[30:31]
	s_wait_loadcnt 0x0
	v_fmac_f32_e32 v40, v42, v43
	v_cmp_eq_u32_e64 s6, 0, v41
	s_or_b32 s56, s6, s56
	s_delay_alu instid0(SALU_CYCLE_1)
	s_and_not1_b32 exec_lo, exec_lo, s56
	s_cbranch_execnz .LBB2_78
; %bb.79:                               ;   in Loop: Header=BB2_76 Depth=2
	s_or_b32 exec_lo, exec_lo, s56
	s_branch .LBB2_75
.LBB2_80:                               ;   in Loop: Header=BB2_6 Depth=1
                                        ; implicit-def: $sgpr7
                                        ; implicit-def: $vgpr28
                                        ; implicit-def: $vgpr6
	s_cbranch_execnz .LBB2_208
	s_branch .LBB2_211
.LBB2_81:                               ;   in Loop: Header=BB2_6 Depth=1
	s_or_b32 exec_lo, exec_lo, s7
	s_wait_storecnt 0x0
	s_barrier_signal -1
	s_barrier_wait -1
	ds_load_b32 v6, v7 offset:2048
	v_bfrev_b32_e32 v26, -2
	s_mov_b32 s7, exec_lo
	s_wait_dscnt 0x0
	v_dual_mov_b32 v6, 0 :: v_dual_sub_nc_u32 v27, v6, v2
	s_delay_alu instid0(VALU_DEP_1)
	v_cmpx_lt_i32_e64 v0, v27
	s_cbranch_execz .LBB2_85
; %bb.82:                               ;   in Loop: Header=BB2_6 Depth=1
	v_lshlrev_b64_e32 v[24:25], 2, v[2:3]
	v_dual_mov_b32 v6, 0 :: v_dual_mov_b32 v28, v0
	v_bfrev_b32_e32 v26, -2
	s_mov_b32 s54, 0
	s_delay_alu instid0(VALU_DEP_3) | instskip(NEXT) | instid1(VALU_DEP_1)
	v_lshl_add_u64 v[24:25], v[22:23], 2, v[24:25]
	v_add_nc_u64_e32 v[24:25], v[10:11], v[24:25]
.LBB2_83:                               ;   Parent Loop BB2_6 Depth=1
                                        ; =>  This Inner Loop Header: Depth=2
	global_load_b32 v29, v[24:25], off
	v_cmp_eq_u32_e32 vcc_lo, 0x7fffffff, v26
	v_add_nc_u32_e32 v30, 1, v28
	v_add_nc_u32_e32 v28, 0x100, v28
	s_wait_xcnt 0x0
	v_add_nc_u64_e32 v[24:25], 0x400, v[24:25]
	s_delay_alu instid0(VALU_DEP_2)
	v_cmp_ge_i32_e64 s6, v28, v27
	s_wait_loadcnt 0x0
	v_cmp_lt_f32_e64 s55, v6, |v29|
	s_or_b32 vcc_lo, s55, vcc_lo
	s_or_b32 s54, s6, s54
	v_cndmask_b32_e64 v6, v6, |v29|, vcc_lo
	v_cndmask_b32_e32 v26, v26, v30, vcc_lo
	s_and_not1_b32 exec_lo, exec_lo, s54
	s_cbranch_execnz .LBB2_83
; %bb.84:                               ;   in Loop: Header=BB2_6 Depth=1
	s_or_b32 exec_lo, exec_lo, s54
.LBB2_85:                               ;   in Loop: Header=BB2_6 Depth=1
	s_delay_alu instid0(SALU_CYCLE_1) | instskip(NEXT) | instid1(SALU_CYCLE_1)
	s_or_b32 exec_lo, exec_lo, s7
	s_mov_b32 s54, exec_lo
	ds_store_b32 v34, v6
	ds_store_b32 v4, v26
	s_wait_dscnt 0x0
	s_barrier_signal -1
	s_barrier_wait -1
	v_cmpx_lt_i32_e32 1, v27
	s_cbranch_execz .LBB2_121
; %bb.86:                               ;   in Loop: Header=BB2_6 Depth=1
	s_and_saveexec_b32 s7, s0
	s_cbranch_execz .LBB2_92
; %bb.87:                               ;   in Loop: Header=BB2_6 Depth=1
	ds_load_b32 v24, v34 offset:512
	ds_load_b32 v25, v4 offset:512
	s_mov_b32 s56, exec_lo
	s_wait_dscnt 0x1
	v_cmp_lt_f32_e64 s55, v6, v24
	v_cmpx_nlt_f32_e32 v6, v24
	s_cbranch_execz .LBB2_89
; %bb.88:                               ;   in Loop: Header=BB2_6 Depth=1
	v_cmp_eq_f32_e32 vcc_lo, v6, v24
	s_wait_dscnt 0x0
	v_cmp_gt_i32_e64 s6, v26, v25
	s_and_not1_b32 s55, s55, exec_lo
	s_and_b32 s6, vcc_lo, s6
	s_delay_alu instid0(SALU_CYCLE_1) | instskip(NEXT) | instid1(SALU_CYCLE_1)
	s_and_b32 s6, s6, exec_lo
	s_or_b32 s55, s55, s6
.LBB2_89:                               ;   in Loop: Header=BB2_6 Depth=1
	s_or_b32 exec_lo, exec_lo, s56
	s_and_saveexec_b32 s6, s55
	s_cbranch_execz .LBB2_91
; %bb.90:                               ;   in Loop: Header=BB2_6 Depth=1
	s_wait_dscnt 0x0
	v_dual_mov_b32 v26, v25 :: v_dual_mov_b32 v6, v24
	ds_store_b32 v34, v24
	ds_store_b32 v4, v25
.LBB2_91:                               ;   in Loop: Header=BB2_6 Depth=1
	s_or_b32 exec_lo, exec_lo, s6
.LBB2_92:                               ;   in Loop: Header=BB2_6 Depth=1
	s_delay_alu instid0(SALU_CYCLE_1)
	s_or_b32 exec_lo, exec_lo, s7
	s_wait_dscnt 0x0
	s_barrier_signal -1
	s_barrier_wait -1
	s_and_saveexec_b32 s7, s1
	s_cbranch_execz .LBB2_98
; %bb.93:                               ;   in Loop: Header=BB2_6 Depth=1
	ds_load_b32 v24, v34 offset:256
	ds_load_b32 v25, v4 offset:256
	s_mov_b32 s56, exec_lo
	s_wait_dscnt 0x1
	v_cmp_lt_f32_e64 s55, v6, v24
	v_cmpx_nlt_f32_e32 v6, v24
	s_cbranch_execz .LBB2_95
; %bb.94:                               ;   in Loop: Header=BB2_6 Depth=1
	v_cmp_eq_f32_e32 vcc_lo, v6, v24
	s_wait_dscnt 0x0
	v_cmp_gt_i32_e64 s6, v26, v25
	s_and_not1_b32 s55, s55, exec_lo
	s_and_b32 s6, vcc_lo, s6
	s_delay_alu instid0(SALU_CYCLE_1) | instskip(NEXT) | instid1(SALU_CYCLE_1)
	s_and_b32 s6, s6, exec_lo
	s_or_b32 s55, s55, s6
.LBB2_95:                               ;   in Loop: Header=BB2_6 Depth=1
	s_or_b32 exec_lo, exec_lo, s56
	s_and_saveexec_b32 s6, s55
	s_cbranch_execz .LBB2_97
; %bb.96:                               ;   in Loop: Header=BB2_6 Depth=1
	s_wait_dscnt 0x0
	v_dual_mov_b32 v26, v25 :: v_dual_mov_b32 v6, v24
	ds_store_b32 v34, v24
	ds_store_b32 v4, v25
.LBB2_97:                               ;   in Loop: Header=BB2_6 Depth=1
	s_or_b32 exec_lo, exec_lo, s6
.LBB2_98:                               ;   in Loop: Header=BB2_6 Depth=1
	s_delay_alu instid0(SALU_CYCLE_1)
	s_or_b32 exec_lo, exec_lo, s7
	s_wait_dscnt 0x0
	s_barrier_signal -1
	s_barrier_wait -1
	s_and_b32 exec_lo, exec_lo, s3
	s_cbranch_execz .LBB2_121
; %bb.99:                               ;   in Loop: Header=BB2_6 Depth=1
	ds_load_b32 v24, v34 offset:128
	ds_load_b32 v25, v4 offset:128
	s_mov_b32 s55, exec_lo
	s_wait_dscnt 0x1
	v_cmp_lt_f32_e64 s7, v6, v24
	v_cmpx_nlt_f32_e32 v6, v24
	s_cbranch_execz .LBB2_101
; %bb.100:                              ;   in Loop: Header=BB2_6 Depth=1
	v_cmp_eq_f32_e32 vcc_lo, v6, v24
	s_wait_dscnt 0x0
	v_cmp_gt_i32_e64 s6, v26, v25
	s_and_not1_b32 s7, s7, exec_lo
	s_and_b32 s6, vcc_lo, s6
	s_delay_alu instid0(SALU_CYCLE_1) | instskip(NEXT) | instid1(SALU_CYCLE_1)
	s_and_b32 s6, s6, exec_lo
	s_or_b32 s7, s7, s6
.LBB2_101:                              ;   in Loop: Header=BB2_6 Depth=1
	s_or_b32 exec_lo, exec_lo, s55
	s_and_saveexec_b32 s6, s7
	s_cbranch_execz .LBB2_103
; %bb.102:                              ;   in Loop: Header=BB2_6 Depth=1
	s_wait_dscnt 0x0
	v_dual_mov_b32 v6, v24 :: v_dual_mov_b32 v26, v25
	ds_store_b32 v34, v24
	ds_store_b32 v4, v25
.LBB2_103:                              ;   in Loop: Header=BB2_6 Depth=1
	s_or_b32 exec_lo, exec_lo, s6
	ds_load_b32 v24, v34 offset:64
	s_wait_dscnt 0x1
	ds_load_b32 v25, v4 offset:64
	s_mov_b32 s55, exec_lo
	s_wait_dscnt 0x1
	v_cmp_lt_f32_e64 s7, v6, v24
	v_cmpx_nlt_f32_e32 v6, v24
	s_cbranch_execz .LBB2_105
; %bb.104:                              ;   in Loop: Header=BB2_6 Depth=1
	v_cmp_eq_f32_e32 vcc_lo, v6, v24
	s_wait_dscnt 0x0
	v_cmp_gt_i32_e64 s6, v26, v25
	s_and_not1_b32 s7, s7, exec_lo
	s_and_b32 s6, vcc_lo, s6
	s_delay_alu instid0(SALU_CYCLE_1) | instskip(NEXT) | instid1(SALU_CYCLE_1)
	s_and_b32 s6, s6, exec_lo
	s_or_b32 s7, s7, s6
.LBB2_105:                              ;   in Loop: Header=BB2_6 Depth=1
	s_or_b32 exec_lo, exec_lo, s55
	s_and_saveexec_b32 s6, s7
	s_cbranch_execz .LBB2_107
; %bb.106:                              ;   in Loop: Header=BB2_6 Depth=1
	s_wait_dscnt 0x0
	v_dual_mov_b32 v6, v24 :: v_dual_mov_b32 v26, v25
	ds_store_b32 v34, v24
	ds_store_b32 v4, v25
.LBB2_107:                              ;   in Loop: Header=BB2_6 Depth=1
	s_or_b32 exec_lo, exec_lo, s6
	ds_load_b32 v24, v34 offset:32
	s_wait_dscnt 0x1
	;; [unrolled: 28-line block ×5, first 2 shown]
	ds_load_b32 v25, v4 offset:4
	s_wait_dscnt 0x1
	v_cmp_eq_f32_e32 vcc_lo, v6, v24
	s_wait_dscnt 0x0
	v_cmp_gt_i32_e64 s6, v26, v25
	v_cmp_lt_f32_e64 s7, v6, v24
	s_and_b32 s6, vcc_lo, s6
	s_delay_alu instid0(SALU_CYCLE_1) | instskip(NEXT) | instid1(SALU_CYCLE_1)
	s_or_b32 s6, s7, s6
	s_and_b32 exec_lo, exec_lo, s6
	s_cbranch_execz .LBB2_121
; %bb.120:                              ;   in Loop: Header=BB2_6 Depth=1
	ds_store_b32 v34, v24
	ds_store_b32 v4, v25
.LBB2_121:                              ;   in Loop: Header=BB2_6 Depth=1
	s_or_b32 exec_lo, exec_lo, s54
	s_and_saveexec_b32 s6, s2
	s_cbranch_execz .LBB2_123
; %bb.122:                              ;   in Loop: Header=BB2_6 Depth=1
	ds_load_b32 v6, v7 offset:1024
	s_wait_dscnt 0x0
	ds_store_b32 v7, v6 offset:2064
.LBB2_123:                              ;   in Loop: Header=BB2_6 Depth=1
	s_or_b32 exec_lo, exec_lo, s6
	ds_load_b32 v6, v7 offset:2048
	s_wait_dscnt 0x0
	v_cmp_le_i32_e32 vcc_lo, s48, v6
	v_readfirstlane_b32 s6, v6
	s_cbranch_vccnz .LBB2_168
; %bb.124:                              ;   in Loop: Header=BB2_6 Depth=1
	v_mov_b32_e32 v6, 0
	v_bfrev_b32_e32 v26, -2
	s_not_b32 s7, s6
	s_mov_b32 s55, exec_lo
	s_add_co_i32 s54, s20, s7
	s_delay_alu instid0(SALU_CYCLE_1)
	v_cmpx_gt_i32_e64 s54, v0
	s_cbranch_execz .LBB2_128
; %bb.125:                              ;   in Loop: Header=BB2_6 Depth=1
	v_lshlrev_b64_e32 v[24:25], 2, v[22:23]
	s_ashr_i32 s7, s6, 31
	v_dual_mov_b32 v6, 0 :: v_dual_mov_b32 v23, v0
	v_bfrev_b32_e32 v26, -2
	s_delay_alu instid0(VALU_DEP_3) | instskip(SKIP_1) | instid1(VALU_DEP_1)
	v_lshl_add_u64 v[24:25], s[6:7], 2, v[24:25]
	s_mov_b32 s7, 0
	v_add_nc_u64_e32 v[24:25], v[14:15], v[24:25]
.LBB2_126:                              ;   Parent Loop BB2_6 Depth=1
                                        ; =>  This Inner Loop Header: Depth=2
	global_load_b32 v27, v[24:25], off
	v_cmp_eq_u32_e32 vcc_lo, 0x7fffffff, v26
	v_add_nc_u32_e32 v28, 1, v23
	s_wait_xcnt 0x0
	v_add_nc_u64_e32 v[24:25], 0x400, v[24:25]
	s_wait_loadcnt 0x0
	v_cmp_lt_f32_e64 s56, v6, |v27|
	s_or_b32 vcc_lo, s56, vcc_lo
	v_dual_cndmask_b32 v26, v26, v28 :: v_dual_add_nc_u32 v23, 0x100, v23
	v_cndmask_b32_e64 v6, v6, |v27|, vcc_lo
	s_delay_alu instid0(VALU_DEP_2) | instskip(SKIP_1) | instid1(SALU_CYCLE_1)
	v_cmp_le_i32_e64 s6, s54, v23
	s_or_b32 s7, s6, s7
	s_and_not1_b32 exec_lo, exec_lo, s7
	s_cbranch_execnz .LBB2_126
; %bb.127:                              ;   in Loop: Header=BB2_6 Depth=1
	s_or_b32 exec_lo, exec_lo, s7
.LBB2_128:                              ;   in Loop: Header=BB2_6 Depth=1
	s_delay_alu instid0(SALU_CYCLE_1)
	s_or_b32 exec_lo, exec_lo, s55
	s_cmp_lt_i32 s54, 2
	ds_store_b32 v34, v6
	ds_store_b32 v4, v26
	s_wait_dscnt 0x0
	s_barrier_signal -1
	s_barrier_wait -1
	s_cbranch_scc1 .LBB2_165
; %bb.129:                              ;   in Loop: Header=BB2_6 Depth=1
	s_and_saveexec_b32 s7, s0
	s_cbranch_execz .LBB2_135
; %bb.130:                              ;   in Loop: Header=BB2_6 Depth=1
	ds_load_b32 v23, v34 offset:512
	ds_load_b32 v24, v4 offset:512
	s_mov_b32 s55, exec_lo
	s_wait_dscnt 0x1
	v_cmp_lt_f32_e64 s54, v6, v23
	v_cmpx_nlt_f32_e32 v6, v23
	s_cbranch_execz .LBB2_132
; %bb.131:                              ;   in Loop: Header=BB2_6 Depth=1
	v_cmp_eq_f32_e32 vcc_lo, v6, v23
	s_wait_dscnt 0x0
	v_cmp_gt_i32_e64 s6, v26, v24
	s_and_not1_b32 s54, s54, exec_lo
	s_and_b32 s6, vcc_lo, s6
	s_delay_alu instid0(SALU_CYCLE_1) | instskip(NEXT) | instid1(SALU_CYCLE_1)
	s_and_b32 s6, s6, exec_lo
	s_or_b32 s54, s54, s6
.LBB2_132:                              ;   in Loop: Header=BB2_6 Depth=1
	s_or_b32 exec_lo, exec_lo, s55
	s_and_saveexec_b32 s6, s54
	s_cbranch_execz .LBB2_134
; %bb.133:                              ;   in Loop: Header=BB2_6 Depth=1
	s_wait_dscnt 0x0
	v_dual_mov_b32 v26, v24 :: v_dual_mov_b32 v6, v23
	ds_store_b32 v34, v23
	ds_store_b32 v4, v24
.LBB2_134:                              ;   in Loop: Header=BB2_6 Depth=1
	s_or_b32 exec_lo, exec_lo, s6
.LBB2_135:                              ;   in Loop: Header=BB2_6 Depth=1
	s_delay_alu instid0(SALU_CYCLE_1)
	s_or_b32 exec_lo, exec_lo, s7
	s_wait_dscnt 0x0
	s_barrier_signal -1
	s_barrier_wait -1
	s_and_saveexec_b32 s7, s1
	s_cbranch_execz .LBB2_141
; %bb.136:                              ;   in Loop: Header=BB2_6 Depth=1
	ds_load_b32 v23, v34 offset:256
	ds_load_b32 v24, v4 offset:256
	s_mov_b32 s55, exec_lo
	s_wait_dscnt 0x1
	v_cmp_lt_f32_e64 s54, v6, v23
	v_cmpx_nlt_f32_e32 v6, v23
	s_cbranch_execz .LBB2_138
; %bb.137:                              ;   in Loop: Header=BB2_6 Depth=1
	v_cmp_eq_f32_e32 vcc_lo, v6, v23
	s_wait_dscnt 0x0
	v_cmp_gt_i32_e64 s6, v26, v24
	s_and_not1_b32 s54, s54, exec_lo
	s_and_b32 s6, vcc_lo, s6
	s_delay_alu instid0(SALU_CYCLE_1) | instskip(NEXT) | instid1(SALU_CYCLE_1)
	s_and_b32 s6, s6, exec_lo
	s_or_b32 s54, s54, s6
.LBB2_138:                              ;   in Loop: Header=BB2_6 Depth=1
	s_or_b32 exec_lo, exec_lo, s55
	s_and_saveexec_b32 s6, s54
	s_cbranch_execz .LBB2_140
; %bb.139:                              ;   in Loop: Header=BB2_6 Depth=1
	s_wait_dscnt 0x0
	v_dual_mov_b32 v26, v24 :: v_dual_mov_b32 v6, v23
	ds_store_b32 v34, v23
	ds_store_b32 v4, v24
.LBB2_140:                              ;   in Loop: Header=BB2_6 Depth=1
	s_or_b32 exec_lo, exec_lo, s6
.LBB2_141:                              ;   in Loop: Header=BB2_6 Depth=1
	s_delay_alu instid0(SALU_CYCLE_1)
	s_or_b32 exec_lo, exec_lo, s7
	s_wait_dscnt 0x0
	s_barrier_signal -1
	s_barrier_wait -1
	s_and_saveexec_b32 s54, s3
	s_cbranch_execz .LBB2_164
; %bb.142:                              ;   in Loop: Header=BB2_6 Depth=1
	ds_load_b32 v23, v34 offset:128
	ds_load_b32 v24, v4 offset:128
	s_mov_b32 s55, exec_lo
	s_wait_dscnt 0x1
	v_cmp_lt_f32_e64 s7, v6, v23
	v_cmpx_nlt_f32_e32 v6, v23
	s_cbranch_execz .LBB2_144
; %bb.143:                              ;   in Loop: Header=BB2_6 Depth=1
	v_cmp_eq_f32_e32 vcc_lo, v6, v23
	s_wait_dscnt 0x0
	v_cmp_gt_i32_e64 s6, v26, v24
	s_and_not1_b32 s7, s7, exec_lo
	s_and_b32 s6, vcc_lo, s6
	s_delay_alu instid0(SALU_CYCLE_1) | instskip(NEXT) | instid1(SALU_CYCLE_1)
	s_and_b32 s6, s6, exec_lo
	s_or_b32 s7, s7, s6
.LBB2_144:                              ;   in Loop: Header=BB2_6 Depth=1
	s_or_b32 exec_lo, exec_lo, s55
	s_and_saveexec_b32 s6, s7
	s_cbranch_execz .LBB2_146
; %bb.145:                              ;   in Loop: Header=BB2_6 Depth=1
	s_wait_dscnt 0x0
	v_dual_mov_b32 v6, v23 :: v_dual_mov_b32 v26, v24
	ds_store_b32 v34, v23
	ds_store_b32 v4, v24
.LBB2_146:                              ;   in Loop: Header=BB2_6 Depth=1
	s_or_b32 exec_lo, exec_lo, s6
	ds_load_b32 v23, v34 offset:64
	s_wait_dscnt 0x1
	ds_load_b32 v24, v4 offset:64
	s_mov_b32 s55, exec_lo
	s_wait_dscnt 0x1
	v_cmp_lt_f32_e64 s7, v6, v23
	v_cmpx_nlt_f32_e32 v6, v23
	s_cbranch_execz .LBB2_148
; %bb.147:                              ;   in Loop: Header=BB2_6 Depth=1
	v_cmp_eq_f32_e32 vcc_lo, v6, v23
	s_wait_dscnt 0x0
	v_cmp_gt_i32_e64 s6, v26, v24
	s_and_not1_b32 s7, s7, exec_lo
	s_and_b32 s6, vcc_lo, s6
	s_delay_alu instid0(SALU_CYCLE_1) | instskip(NEXT) | instid1(SALU_CYCLE_1)
	s_and_b32 s6, s6, exec_lo
	s_or_b32 s7, s7, s6
.LBB2_148:                              ;   in Loop: Header=BB2_6 Depth=1
	s_or_b32 exec_lo, exec_lo, s55
	s_and_saveexec_b32 s6, s7
	s_cbranch_execz .LBB2_150
; %bb.149:                              ;   in Loop: Header=BB2_6 Depth=1
	s_wait_dscnt 0x0
	v_dual_mov_b32 v6, v23 :: v_dual_mov_b32 v26, v24
	ds_store_b32 v34, v23
	ds_store_b32 v4, v24
.LBB2_150:                              ;   in Loop: Header=BB2_6 Depth=1
	s_or_b32 exec_lo, exec_lo, s6
	ds_load_b32 v23, v34 offset:32
	s_wait_dscnt 0x1
	;; [unrolled: 28-line block ×5, first 2 shown]
	ds_load_b32 v24, v4 offset:4
	s_wait_dscnt 0x1
	v_cmp_eq_f32_e32 vcc_lo, v6, v23
	s_wait_dscnt 0x0
	v_cmp_gt_i32_e64 s6, v26, v24
	v_cmp_lt_f32_e64 s7, v6, v23
	s_and_b32 s6, vcc_lo, s6
	s_delay_alu instid0(SALU_CYCLE_1) | instskip(NEXT) | instid1(SALU_CYCLE_1)
	s_or_b32 s6, s7, s6
	s_and_b32 exec_lo, exec_lo, s6
	s_cbranch_execz .LBB2_164
; %bb.163:                              ;   in Loop: Header=BB2_6 Depth=1
	ds_store_b32 v34, v23
	ds_store_b32 v4, v24
.LBB2_164:                              ;   in Loop: Header=BB2_6 Depth=1
	s_or_b32 exec_lo, exec_lo, s54
.LBB2_165:                              ;   in Loop: Header=BB2_6 Depth=1
	s_and_saveexec_b32 s6, s2
	s_cbranch_execz .LBB2_167
; %bb.166:                              ;   in Loop: Header=BB2_6 Depth=1
	ds_load_b32 v6, v7 offset:2064
	ds_load_b32 v23, v7 offset:1024
	s_wait_dscnt 0x0
	v_cmp_lt_f32_e32 vcc_lo, v6, v23
	v_cndmask_b32_e32 v6, v6, v23, vcc_lo
	ds_store_b32 v7, v6 offset:2064
.LBB2_167:                              ;   in Loop: Header=BB2_6 Depth=1
	s_or_b32 exec_lo, exec_lo, s6
.LBB2_168:                              ;   in Loop: Header=BB2_6 Depth=1
	s_wait_dscnt 0x0
	s_barrier_signal -1
	s_barrier_wait -1
	ds_load_b64 v[24:25], v7 offset:2056
	ds_load_b32 v6, v7 offset:2064
	s_wait_dscnt 0x0
	v_div_scale_f32 v23, null, v6, v6, v25
	s_delay_alu instid0(VALU_DEP_1)
	v_rcp_f32_e32 v26, v23
	v_nop
	v_xor_b32_e32 v23, 0x80000000, v23
	s_delay_alu instid0(TRANS32_DEP_1) | instid1(VALU_DEP_1)
	v_fma_f32 v27, v23, v26, 1.0
	s_delay_alu instid0(VALU_DEP_1) | instskip(SKIP_1) | instid1(VALU_DEP_1)
	v_fmac_f32_e32 v26, v27, v26
	v_div_scale_f32 v27, vcc_lo, v25, v6, v25
	v_mul_f32_e32 v28, v27, v26
	s_delay_alu instid0(VALU_DEP_1) | instskip(NEXT) | instid1(VALU_DEP_1)
	v_fma_f32 v29, v23, v28, v27
	v_fmac_f32_e32 v28, v29, v26
	s_delay_alu instid0(VALU_DEP_1) | instskip(NEXT) | instid1(VALU_DEP_1)
	v_fmac_f32_e32 v27, v23, v28
	v_div_fmas_f32 v23, v27, v26, v28
	v_mul_f32_e32 v26, 0x3f23f07b, v25
	s_delay_alu instid0(VALU_DEP_2) | instskip(NEXT) | instid1(VALU_DEP_1)
	v_div_fixup_f32 v23, v23, v6, v25
	v_mul_f32_e32 v23, v26, v23
	s_delay_alu instid0(VALU_DEP_1)
	v_cmp_ge_f32_e32 vcc_lo, v24, v23
	s_cbranch_vccnz .LBB2_175
; %bb.169:                              ;   in Loop: Header=BB2_6 Depth=1
	ds_load_b32 v28, v7 offset:2048
	v_mul_f32_e32 v6, 0x3f23f07b, v6
	s_mov_b32 s54, 0
	s_wait_dscnt 0x0
	v_add_nc_u32_e32 v23, v28, v22
	global_load_b32 v23, v23, s[22:23] scale_offset
	s_wait_loadcnt 0x0
	v_cmp_ge_f32_e64 s7, |v23|, v6
	v_mov_b32_e32 v6, 2
	s_and_saveexec_b32 s6, s7
	s_cbranch_execz .LBB2_174
; %bb.170:                              ;   in Loop: Header=BB2_6 Depth=1
	s_and_saveexec_b32 s7, s5
	s_cbranch_execz .LBB2_173
; %bb.171:                              ;   in Loop: Header=BB2_6 Depth=1
	v_mad_u32 v24, s51, v2, v0
	v_add3_u32 v22, v0, v2, v22
	v_mov_b32_e32 v6, v0
	s_mov_b32 s5, 0
	s_delay_alu instid0(VALU_DEP_2) | instskip(NEXT) | instid1(VALU_DEP_1)
	v_dual_ashrrev_i32 v23, 31, v22 :: v_dual_ashrrev_i32 v25, 31, v24
	v_lshl_add_u64 v[22:23], v[22:23], 2, s[36:37]
	s_delay_alu instid0(VALU_DEP_2)
	v_lshl_add_u64 v[24:25], v[24:25], 2, s[36:37]
.LBB2_172:                              ;   Parent Loop BB2_6 Depth=1
                                        ; =>  This Inner Loop Header: Depth=2
	global_load_b32 v26, v[22:23], off
	v_add_nc_u32_e32 v6, 0x100, v6
	s_wait_xcnt 0x0
	v_add_nc_u64_e32 v[22:23], 0x400, v[22:23]
	s_delay_alu instid0(VALU_DEP_2)
	v_cmp_ge_i32_e32 vcc_lo, v6, v38
	s_or_b32 s5, vcc_lo, s5
	s_wait_loadcnt 0x0
	global_store_b32 v[24:25], v26, off
	s_wait_xcnt 0x0
	v_add_nc_u64_e32 v[24:25], 0x400, v[24:25]
	s_and_not1_b32 exec_lo, exec_lo, s5
	s_cbranch_execnz .LBB2_172
.LBB2_173:                              ;   in Loop: Header=BB2_6 Depth=1
	s_or_b32 exec_lo, exec_lo, s7
	v_mov_b32_e32 v6, 1
	s_mov_b32 s54, exec_lo
	s_wait_storecnt 0x0
	s_barrier_signal -1
	s_barrier_wait -1
.LBB2_174:                              ;   in Loop: Header=BB2_6 Depth=1
	s_or_b32 exec_lo, exec_lo, s6
	s_branch .LBB2_176
.LBB2_175:                              ;   in Loop: Header=BB2_6 Depth=1
	v_dual_mov_b32 v6, 1 :: v_dual_mov_b32 v28, v2
	s_mov_b32 s54, -1
.LBB2_176:                              ;   in Loop: Header=BB2_6 Depth=1
	s_delay_alu instid0(VALU_DEP_1) | instskip(SKIP_1) | instid1(VALU_DEP_1)
	v_add_nc_u32_e32 v22, v6, v2
	s_mov_b32 s5, exec_lo
	v_add_nc_u32_e32 v23, -1, v22
	s_delay_alu instid0(VALU_DEP_1)
	v_cmpx_ne_u32_e64 v28, v23
	s_cbranch_execz .LBB2_192
; %bb.177:                              ;   in Loop: Header=BB2_6 Depth=1
	s_and_saveexec_b32 s6, s2
	s_cbranch_execz .LBB2_179
; %bb.178:                              ;   in Loop: Header=BB2_6 Depth=1
	v_mul_lo_u32 v24, v23, s49
	v_mul_lo_u32 v25, v28, s49
	global_load_b32 v24, v24, s[8:9] scale_offset
	s_wait_loadcnt 0x0
	global_store_b32 v25, v24, s[8:9] scale_offset
.LBB2_179:                              ;   in Loop: Header=BB2_6 Depth=1
	s_wait_xcnt 0x0
	s_or_b32 exec_lo, exec_lo, s6
	v_sub_nc_u32_e32 v24, v28, v22
	s_mov_b32 s6, exec_lo
	s_delay_alu instid0(VALU_DEP_1)
	v_cmpx_lt_i32_e64 v0, v24
	s_cbranch_execz .LBB2_182
; %bb.180:                              ;   in Loop: Header=BB2_6 Depth=1
	v_add3_u32 v25, v0, v6, v2
	v_mad_u32 v26, v23, s19, v22
	v_mov_b32_e32 v27, v0
	s_mov_b32 s7, 0
	s_delay_alu instid0(VALU_DEP_3)
	v_mad_u32 v25, s19, v25, v28
.LBB2_181:                              ;   Parent Loop BB2_6 Depth=1
                                        ; =>  This Inner Loop Header: Depth=2
	s_delay_alu instid0(VALU_DEP_2)
	v_add_nc_u32_e32 v29, v26, v27
	v_add_nc_u32_e32 v27, 0x100, v27
	global_load_b32 v29, v29, s[8:9] scale_offset
	v_cmp_ge_i32_e32 vcc_lo, v27, v24
	s_or_b32 s7, vcc_lo, s7
	s_wait_loadcnt 0x0
	global_store_b32 v25, v29, s[8:9] scale_offset
	s_wait_xcnt 0x0
	v_add_nc_u32_e32 v25, s40, v25
	s_and_not1_b32 exec_lo, exec_lo, s7
	s_cbranch_execnz .LBB2_181
.LBB2_182:                              ;   in Loop: Header=BB2_6 Depth=1
	s_or_b32 exec_lo, exec_lo, s6
	v_xad_u32 v24, v28, -1, s20
	s_mov_b32 s6, exec_lo
	s_delay_alu instid0(VALU_DEP_1)
	v_cmpx_lt_i32_e64 v0, v24
	s_cbranch_execz .LBB2_185
; %bb.183:                              ;   in Loop: Header=BB2_6 Depth=1
	v_mul_lo_u32 v25, v23, s19
	v_mad_u32 v23, s49, v28, 1
	v_mov_b32_e32 v26, v0
	s_mov_b32 s7, 0
	s_delay_alu instid0(VALU_DEP_3)
	v_add3_u32 v25, v28, v25, 1
.LBB2_184:                              ;   Parent Loop BB2_6 Depth=1
                                        ; =>  This Inner Loop Header: Depth=2
	s_delay_alu instid0(VALU_DEP_1)
	v_dual_add_nc_u32 v27, v25, v26 :: v_dual_add_nc_u32 v29, v23, v26
	v_add_nc_u32_e32 v26, 0x100, v26
	global_load_b32 v27, v27, s[8:9] scale_offset
	v_cmp_ge_i32_e32 vcc_lo, v26, v24
	s_or_b32 s7, vcc_lo, s7
	s_wait_loadcnt 0x0
	global_store_b32 v29, v27, s[8:9] scale_offset
	s_wait_xcnt 0x0
	s_and_not1_b32 exec_lo, exec_lo, s7
	s_cbranch_execnz .LBB2_184
.LBB2_185:                              ;   in Loop: Header=BB2_6 Depth=1
	s_or_b32 exec_lo, exec_lo, s6
	s_delay_alu instid0(SALU_CYCLE_1)
	s_mov_b32 s6, exec_lo
	s_wait_storecnt 0x0
	s_barrier_signal -1
	s_barrier_wait -1
	v_cmpx_lt_u32_e64 v0, v2
	s_cbranch_execz .LBB2_188
; %bb.186:                              ;   in Loop: Header=BB2_6 Depth=1
	v_dual_mov_b32 v24, v5 :: v_dual_ashrrev_i32 v23, 31, v22
	v_mov_b32_e32 v26, v0
	s_mov_b32 s7, 0
.LBB2_187:                              ;   Parent Loop BB2_6 Depth=1
                                        ; =>  This Inner Loop Header: Depth=2
	s_delay_alu instid0(VALU_DEP_2) | instskip(NEXT) | instid1(VALU_DEP_2)
	v_ashrrev_i32_e32 v25, 31, v24
	v_add_nc_u32_e32 v26, 0x100, v26
	s_delay_alu instid0(VALU_DEP_2) | instskip(SKIP_1) | instid1(VALU_DEP_3)
	v_add_nc_u64_e32 v[30:31], v[24:25], v[22:23]
	v_add_nc_u32_e32 v25, v28, v24
	v_cmp_ge_u32_e32 vcc_lo, v26, v2
	v_add_nc_u32_e32 v24, s40, v24
	s_or_b32 s7, vcc_lo, s7
	s_delay_alu instid0(VALU_DEP_4)
	v_lshl_add_u64 v[30:31], v[30:31], 2, s[8:9]
	s_clause 0x1
	global_load_b32 v27, v25, s[8:9] scale_offset
	global_load_b32 v29, v[30:31], off offset:-4
	s_wait_loadcnt 0x1
	global_store_b32 v[30:31], v27, off offset:-4
	s_wait_loadcnt 0x0
	global_store_b32 v25, v29, s[8:9] scale_offset
	s_wait_xcnt 0x0
	s_and_not1_b32 exec_lo, exec_lo, s7
	s_cbranch_execnz .LBB2_187
.LBB2_188:                              ;   in Loop: Header=BB2_6 Depth=1
	s_or_b32 exec_lo, exec_lo, s6
	v_cmp_lt_u32_e32 vcc_lo, v0, v22
	s_and_b32 exec_lo, exec_lo, vcc_lo
	s_cbranch_execz .LBB2_191
; %bb.189:                              ;   in Loop: Header=BB2_6 Depth=1
	v_add_nc_u64_e32 v[24:25], v[8:9], v[6:7]
	v_add_nc_u32_e32 v26, v8, v28
	s_mov_b32 s55, 0
	s_mov_b64 s[6:7], s[22:23]
	s_delay_alu instid0(VALU_DEP_1) | instskip(NEXT) | instid1(VALU_DEP_3)
	v_dual_mov_b32 v6, v0 :: v_dual_ashrrev_i32 v27, 31, v26
	v_add_nc_u64_e32 v[30:31], v[24:25], v[2:3]
	s_delay_alu instid0(VALU_DEP_2) | instskip(NEXT) | instid1(VALU_DEP_2)
	v_lshlrev_b64_e32 v[24:25], 2, v[26:27]
	v_lshl_add_u64 v[26:27], v[30:31], 2, -4
.LBB2_190:                              ;   Parent Loop BB2_6 Depth=1
                                        ; =>  This Inner Loop Header: Depth=2
	s_delay_alu instid0(VALU_DEP_2) | instskip(NEXT) | instid1(VALU_DEP_2)
	v_add_nc_u64_e32 v[30:31], s[6:7], v[24:25]
	v_add_nc_u64_e32 v[32:33], s[6:7], v[26:27]
	v_add_nc_u32_e32 v6, 0x100, v6
	s_add_nc_u64 s[6:7], s[6:7], s[46:47]
	s_clause 0x1
	global_load_b32 v23, v[30:31], off
	global_load_b32 v29, v[32:33], off
	v_cmp_ge_u32_e32 vcc_lo, v6, v22
	s_wait_loadcnt 0x1
	global_store_b32 v[32:33], v23, off
	s_wait_loadcnt 0x0
	global_store_b32 v[30:31], v29, off
	s_or_b32 s55, vcc_lo, s55
	s_wait_xcnt 0x0
	s_and_not1_b32 exec_lo, exec_lo, s55
	s_cbranch_execnz .LBB2_190
.LBB2_191:                              ;   in Loop: Header=BB2_6 Depth=1
	s_wait_storecnt 0x0
	s_barrier_signal -1
	s_barrier_wait -1
.LBB2_192:                              ;   in Loop: Header=BB2_6 Depth=1
	s_or_b32 exec_lo, exec_lo, s5
	s_xor_b32 s5, s54, -1
	s_delay_alu instid0(SALU_CYCLE_1) | instskip(NEXT) | instid1(SALU_CYCLE_1)
	s_and_saveexec_b32 s6, s5
	s_xor_b32 s6, exec_lo, s6
	s_cbranch_execz .LBB2_200
; %bb.193:                              ;   in Loop: Header=BB2_6 Depth=1
	s_mov_b32 s7, exec_lo
	v_cmpx_gt_i32_e64 s50, v2
	s_cbranch_execz .LBB2_197
; %bb.194:                              ;   in Loop: Header=BB2_6 Depth=1
	v_add_nc_u32_e32 v24, v2, v35
	s_delay_alu instid0(VALU_DEP_1)
	v_cmp_gt_i32_e32 vcc_lo, s20, v24
	s_and_b32 exec_lo, exec_lo, vcc_lo
	s_cbranch_execz .LBB2_197
; %bb.195:                              ;   in Loop: Header=BB2_6 Depth=1
	v_mul_lo_u32 v6, v39, s20
	s_delay_alu instid0(VALU_DEP_1)
	v_lshl_add_u64 v[18:19], v[6:7], 2, v[20:21]
	s_clause 0x1
	global_load_b64 v[20:21], v[16:17], off
	global_load_b32 v22, v[18:19], off offset:4
	v_add_nc_u32_e32 v6, v24, v6
	s_wait_loadcnt 0x1
	s_wait_xcnt 0x0
	v_div_scale_f32 v19, null, v21, v21, v20
	s_wait_loadcnt 0x0
	v_div_scale_f32 v18, null, v21, v21, v22
	v_div_scale_f32 v29, vcc_lo, v22, v21, v22
	s_delay_alu instid0(VALU_DEP_3) | instskip(NEXT) | instid1(VALU_DEP_2)
	v_rcp_f32_e32 v25, v19
	v_rcp_f32_e32 v23, v18
	s_delay_alu instid0(TRANS32_DEP_2) | instskip(NEXT) | instid1(TRANS32_DEP_1)
	v_fma_f32 v27, -v19, v25, 1.0
	v_fma_f32 v26, -v18, v23, 1.0
	s_delay_alu instid0(VALU_DEP_1) | instskip(SKIP_1) | instid1(VALU_DEP_1)
	v_dual_fmac_f32 v25, v27, v25 :: v_dual_fmac_f32 v23, v26, v23
	v_div_scale_f32 v26, s5, v20, v21, v20
	v_dual_mul_f32 v27, v29, v23 :: v_dual_mul_f32 v30, v26, v25
	s_delay_alu instid0(VALU_DEP_1) | instskip(NEXT) | instid1(VALU_DEP_1)
	v_dual_fma_f32 v31, -v18, v27, v29 :: v_dual_fma_f32 v32, -v19, v30, v26
	v_dual_fmac_f32 v27, v31, v23 :: v_dual_fmac_f32 v30, v32, v25
	s_delay_alu instid0(VALU_DEP_1) | instskip(NEXT) | instid1(VALU_DEP_1)
	v_dual_fma_f32 v18, -v18, v27, v29 :: v_dual_fma_f32 v19, -v19, v30, v26
	v_div_fmas_f32 v18, v18, v23, v27
	s_mov_b32 vcc_lo, s5
	v_mul_lo_u32 v27, s49, v2
	s_delay_alu instid0(VALU_DEP_3) | instskip(SKIP_3) | instid1(VALU_DEP_3)
	v_div_fmas_f32 v19, v19, v25, v30
	s_mov_b32 s5, 0
	v_div_fixup_f32 v25, v18, v21, v22
	v_mad_u32 v22, s51, v2, v35
	v_div_fixup_f32 v26, v19, v21, v20
	s_delay_alu instid0(VALU_DEP_1) | instskip(NEXT) | instid1(VALU_DEP_1)
	v_fma_f32 v18, v25, v26, -1.0
	v_mul_f32_e32 v29, v21, v18
	s_delay_alu instid0(VALU_DEP_1) | instskip(NEXT) | instid1(VALU_DEP_1)
	v_div_scale_f32 v18, null, v29, v29, 1.0
	v_rcp_f32_e32 v19, v18
	v_nop
	s_delay_alu instid0(TRANS32_DEP_1) | instskip(NEXT) | instid1(VALU_DEP_1)
	v_fma_f32 v20, -v18, v19, 1.0
	v_fmac_f32_e32 v19, v20, v19
	v_div_scale_f32 v21, vcc_lo, 1.0, v29, 1.0
	s_delay_alu instid0(VALU_DEP_1) | instskip(NEXT) | instid1(VALU_DEP_1)
	v_mul_f32_e32 v23, v21, v19
	v_fma_f32 v20, -v18, v23, v21
	s_delay_alu instid0(VALU_DEP_1) | instskip(SKIP_1) | instid1(VALU_DEP_1)
	v_fmac_f32_e32 v23, v20, v19
	v_dual_add_nc_u32 v20, v35, v27 :: v_dual_add_nc_u32 v27, v36, v27
	v_dual_fma_f32 v18, -v18, v23, v21 :: v_dual_ashrrev_i32 v21, 31, v20
	s_delay_alu instid0(VALU_DEP_1) | instskip(SKIP_2) | instid1(VALU_DEP_4)
	v_div_fmas_f32 v30, v18, v19, v23
	v_ashrrev_i32_e32 v23, 31, v22
	v_lshl_add_u64 v[18:19], v[6:7], 2, s[36:37]
	v_lshl_add_u64 v[20:21], v[20:21], 2, s[38:39]
	s_delay_alu instid0(VALU_DEP_4) | instskip(NEXT) | instid1(VALU_DEP_4)
	v_div_fixup_f32 v6, v30, v29, 1.0
	v_lshl_add_u64 v[22:23], v[22:23], 2, s[36:37]
.LBB2_196:                              ;   Parent Loop BB2_6 Depth=1
                                        ; =>  This Inner Loop Header: Depth=2
	global_load_b32 v29, v[22:23], off
	global_load_b32 v30, v[18:19], off
	v_add_nc_u32_e32 v24, 0x100, v24
	s_delay_alu instid0(VALU_DEP_1) | instskip(SKIP_3) | instid1(VALU_DEP_1)
	v_cmp_le_i32_e32 vcc_lo, s20, v24
	s_or_b32 s5, vcc_lo, s5
	s_wait_loadcnt 0x0
	v_fma_f32 v29, v25, v29, -v30
	v_mul_f32_e32 v29, v6, v29
	global_store_b32 v[20:21], v29, off
	global_load_b32 v29, v[18:19], off
	global_load_b32 v30, v[22:23], off
	v_add_nc_u64_e32 v[20:21], 0x400, v[20:21]
	s_wait_xcnt 0x1
	v_add_nc_u64_e32 v[18:19], 0x400, v[18:19]
	s_wait_xcnt 0x0
	v_add_nc_u64_e32 v[22:23], 0x400, v[22:23]
	s_wait_loadcnt 0x0
	v_fma_f32 v29, v26, v29, -v30
	s_delay_alu instid0(VALU_DEP_1)
	v_mul_f32_e32 v29, v6, v29
	global_store_b32 v27, v29, s[8:9] scale_offset
	s_wait_xcnt 0x0
	v_add_nc_u32_e32 v27, 0x100, v27
	s_and_not1_b32 exec_lo, exec_lo, s5
	s_cbranch_execnz .LBB2_196
.LBB2_197:                              ;   in Loop: Header=BB2_6 Depth=1
	s_or_b32 exec_lo, exec_lo, s7
	s_and_saveexec_b32 s5, s2
	s_cbranch_execz .LBB2_199
; %bb.198:                              ;   in Loop: Header=BB2_6 Depth=1
	global_load_b32 v6, v[16:17], off
	v_mul_lo_u32 v18, v2, s19
	v_lshl_add_u64 v[20:21], v[2:3], 2, s[8:9]
	s_delay_alu instid0(VALU_DEP_2) | instskip(NEXT) | instid1(VALU_DEP_1)
	v_ashrrev_i32_e32 v19, 31, v18
	v_lshl_add_u64 v[18:19], v[18:19], 2, v[20:21]
	s_wait_loadcnt 0x0
	global_store_b32 v[18:19], v6, off
	global_load_b32 v6, v[16:17], off offset:4
	s_wait_xcnt 0x0
	v_mul_lo_u32 v16, v39, s51
	s_wait_loadcnt 0x0
	global_store_b32 v[18:19], v6, off offset:4
	global_load_b32 v6, v16, s[22:23] scale_offset
	s_wait_xcnt 0x0
	v_mul_lo_u32 v16, v39, s49
	s_wait_loadcnt 0x0
	global_store_b32 v16, v6, s[8:9] scale_offset
.LBB2_199:                              ;   in Loop: Header=BB2_6 Depth=1
	s_wait_xcnt 0x0
	s_or_b32 exec_lo, exec_lo, s5
	s_wait_storecnt 0x0
	s_barrier_signal -1
	s_barrier_wait -1
                                        ; implicit-def: $vgpr16_vgpr17
                                        ; implicit-def: $vgpr18_vgpr19
                                        ; implicit-def: $vgpr37
.LBB2_200:                              ;   in Loop: Header=BB2_6 Depth=1
	s_or_saveexec_b32 s6, s6
	v_mov_b32_e32 v6, 2
	s_mov_b32 s5, 0
	s_mov_b32 s7, 0
	s_xor_b32 exec_lo, exec_lo, s6
	s_cbranch_execz .LBB2_207
; %bb.201:                              ;   in Loop: Header=BB2_6 Depth=1
	global_load_b32 v6, v[16:17], off
	s_wait_xcnt 0x0
	s_and_saveexec_b32 s7, s2
	s_cbranch_execz .LBB2_203
; %bb.202:                              ;   in Loop: Header=BB2_6 Depth=1
	v_mul_lo_u32 v16, v2, s49
	s_wait_loadcnt 0x0
	global_store_b32 v16, v6, s[8:9] scale_offset
.LBB2_203:                              ;   in Loop: Header=BB2_6 Depth=1
	s_wait_xcnt 0x0
	s_or_b32 exec_lo, exec_lo, s7
	s_and_saveexec_b32 s7, s4
	s_cbranch_execz .LBB2_206
; %bb.204:                              ;   in Loop: Header=BB2_6 Depth=1
	s_wait_loadcnt 0x0
	v_div_scale_f32 v17, null, v6, v6, 1.0
	v_div_scale_f32 v21, vcc_lo, 1.0, v6, 1.0
	s_mov_b32 s4, 0
	v_rcp_f32_e32 v20, v17
	v_nop
	s_delay_alu instid0(TRANS32_DEP_1) | instskip(NEXT) | instid1(VALU_DEP_1)
	v_fma_f32 v16, -v17, v20, 1.0
	v_fmac_f32_e32 v20, v16, v20
	s_delay_alu instid0(VALU_DEP_1) | instskip(NEXT) | instid1(VALU_DEP_1)
	v_mul_f32_e32 v22, v21, v20
	v_fma_f32 v16, -v17, v22, v21
	s_delay_alu instid0(VALU_DEP_1) | instskip(SKIP_1) | instid1(VALU_DEP_2)
	v_fmac_f32_e32 v22, v16, v20
	v_mul_lo_u32 v16, v2, s19
	v_dual_fma_f32 v17, -v17, v22, v21 :: v_dual_mov_b32 v21, v0
	s_delay_alu instid0(VALU_DEP_1) | instskip(NEXT) | instid1(VALU_DEP_3)
	v_div_fmas_f32 v20, v17, v20, v22
	v_ashrrev_i32_e32 v17, 31, v16
	s_delay_alu instid0(VALU_DEP_2)
	v_div_fixup_f32 v20, v20, v6, 1.0
.LBB2_205:                              ;   Parent Loop BB2_6 Depth=1
                                        ; =>  This Inner Loop Header: Depth=2
	s_delay_alu instid0(VALU_DEP_4) | instskip(NEXT) | instid1(VALU_DEP_1)
	v_add_nc_u32_e32 v6, v2, v21
	v_add_nc_u64_e32 v[22:23], v[6:7], v[18:19]
	s_delay_alu instid0(VALU_DEP_1) | instskip(SKIP_4) | instid1(VALU_DEP_1)
	v_lshl_add_u64 v[22:23], v[22:23], 2, s[22:23]
	global_load_b32 v24, v[22:23], off offset:4
	v_add_nc_u32_e32 v21, 0x100, v21
	s_wait_xcnt 0x0
	v_add_nc_u64_e32 v[22:23], v[6:7], v[16:17]
	v_lshl_add_u64 v[22:23], v[22:23], 2, s[8:9]
	s_wait_loadcnt 0x0
	v_mul_f32_e32 v6, v20, v24
	v_cmp_ge_i32_e32 vcc_lo, v21, v37
	global_store_b32 v[22:23], v6, off offset:4
	s_or_b32 s4, vcc_lo, s4
	s_wait_xcnt 0x0
	s_and_not1_b32 exec_lo, exec_lo, s4
	s_cbranch_execnz .LBB2_205
.LBB2_206:                              ;   in Loop: Header=BB2_6 Depth=1
	s_or_b32 exec_lo, exec_lo, s7
	s_wait_loadcnt 0x0
	v_mov_b32_e32 v6, 1
	s_mov_b32 s7, exec_lo
	s_wait_storecnt 0x0
	s_barrier_signal -1
	s_barrier_wait -1
.LBB2_207:                              ;   in Loop: Header=BB2_6 Depth=1
	s_or_b32 exec_lo, exec_lo, s6
	s_delay_alu instid0(SALU_CYCLE_1)
	s_and_b32 vcc_lo, exec_lo, s5
	s_cbranch_vccz .LBB2_211
.LBB2_208:                              ;   in Loop: Header=BB2_6 Depth=1
	ds_load_b32 v6, v7 offset:2052
	s_wait_dscnt 0x0
	v_readfirstlane_b32 s4, v6
	s_cmp_eq_u32 s4, 0
	s_cselect_b32 s4, -1, 0
	s_delay_alu instid0(SALU_CYCLE_1) | instskip(NEXT) | instid1(SALU_CYCLE_1)
	s_and_b32 s5, s2, s4
	s_and_saveexec_b32 s4, s5
; %bb.209:                              ;   in Loop: Header=BB2_6 Depth=1
	ds_store_b32 v7, v39 offset:2052
; %bb.210:                              ;   in Loop: Header=BB2_6 Depth=1
	s_or_b32 exec_lo, exec_lo, s4
	v_dual_mov_b32 v6, 1 :: v_dual_mov_b32 v28, v2
	s_mov_b32 s7, -1
.LBB2_211:                              ;   in Loop: Header=BB2_6 Depth=1
	s_and_saveexec_b32 s4, s2
	s_cbranch_execz .LBB2_4
; %bb.212:                              ;   in Loop: Header=BB2_6 Depth=1
	v_lshl_add_u64 v[16:17], v[2:3], 2, s[16:17]
	s_xor_b32 s5, s7, -1
	s_delay_alu instid0(SALU_CYCLE_1) | instskip(NEXT) | instid1(SALU_CYCLE_1)
	s_and_saveexec_b32 s6, s5
	s_xor_b32 s5, exec_lo, s6
	s_cbranch_execz .LBB2_214
; %bb.213:                              ;   in Loop: Header=BB2_6 Depth=1
	v_not_b32_e32 v18, v28
                                        ; implicit-def: $vgpr28
	s_delay_alu instid0(VALU_DEP_1)
	v_mov_b32_e32 v19, v18
	global_store_b64 v[16:17], v[18:19], off
                                        ; implicit-def: $vgpr16_vgpr17
.LBB2_214:                              ;   in Loop: Header=BB2_6 Depth=1
	s_wait_xcnt 0x0
	s_and_not1_saveexec_b32 s5, s5
	s_cbranch_execz .LBB2_4
; %bb.215:                              ;   in Loop: Header=BB2_6 Depth=1
	v_add_nc_u32_e32 v3, 1, v28
	global_store_b32 v[16:17], v3, off
	s_branch .LBB2_4
.LBB2_216:
	s_or_b32 exec_lo, exec_lo, s41
	s_and_saveexec_b32 s0, s2
	s_cbranch_execz .LBB2_218
.LBB2_217:
	v_mov_b32_e32 v3, 0
	s_lshl_b64 s[2:3], s[34:35], 2
	s_delay_alu instid0(SALU_CYCLE_1)
	s_add_nc_u64 s[4:5], s[12:13], s[2:3]
	s_add_nc_u64 s[2:3], s[10:11], s[2:3]
	ds_load_b32 v5, v3 offset:2052
	global_store_b32 v3, v2, s[4:5]
	s_wait_dscnt 0x0
	global_store_b32 v3, v5, s[2:3]
.LBB2_218:
	s_wait_xcnt 0x0
	s_or_b32 exec_lo, exec_lo, s0
	s_delay_alu instid0(SALU_CYCLE_1)
	s_mov_b32 s1, exec_lo
	v_cmpx_gt_i32_e64 s20, v2
	s_cbranch_execz .LBB2_239
; %bb.219:
	v_dual_ashrrev_i32 v3, 31, v2 :: v_dual_mov_b32 v5, 0
	s_add_nc_u64 s[2:3], s[30:31], s[26:27]
	s_ashr_i32 s5, s21, 31
	s_mov_b32 s4, s21
	s_delay_alu instid0(VALU_DEP_1)
	v_lshlrev_b64_e32 v[6:7], 2, v[2:3]
	v_mov_b32_e32 v10, v2
	s_ashr_i32 s7, s19, 31
	s_mov_b32 s6, s19
	s_mov_b32 s10, 0
	s_lshl_b64 s[6:7], s[6:7], 2
	v_cmp_ne_u32_e32 vcc_lo, 0, v2
	v_add_nc_u64_e32 v[8:9], s[2:3], v[6:7]
	s_add_nc_u64 s[2:3], s[24:25], s[28:29]
	s_delay_alu instid0(SALU_CYCLE_1) | instskip(SKIP_3) | instid1(VALU_DEP_2)
	v_add_nc_u64_e32 v[6:7], s[2:3], v[6:7]
	s_lshl_b64 s[2:3], s[4:5], 2
	s_ashr_i32 s5, s20, 31
	s_mov_b32 s4, s20
	v_add_nc_u64_e32 v[8:9], v[8:9], v[4:5]
	s_lshl_b64 s[4:5], s[4:5], 2
	s_delay_alu instid0(VALU_DEP_1)
	v_add_nc_u64_e32 v[8:9], s[14:15], v[8:9]
	s_branch .LBB2_221
.LBB2_220:                              ;   in Loop: Header=BB2_221 Depth=1
	s_or_b32 exec_lo, exec_lo, s11
	v_add_nc_u32_e32 v10, s21, v10
	v_add_nc_u64_e32 v[6:7], s[2:3], v[6:7]
	v_add_nc_u64_e32 v[8:9], s[2:3], v[8:9]
	s_delay_alu instid0(VALU_DEP_3) | instskip(SKIP_1) | instid1(SALU_CYCLE_1)
	v_cmp_le_i32_e64 s0, s20, v10
	s_or_b32 s10, s0, s10
	s_and_not1_b32 exec_lo, exec_lo, s10
	s_cbranch_execz .LBB2_239
.LBB2_221:                              ; =>This Loop Header: Depth=1
                                        ;     Child Loop BB2_224 Depth 2
                                        ;       Child Loop BB2_227 Depth 3
                                        ;         Child Loop BB2_229 Depth 4
                                        ;     Child Loop BB2_235 Depth 2
                                        ;       Child Loop BB2_237 Depth 3
	v_sub_nc_u32_e32 v3, s20, v10
	s_mov_b32 s11, exec_lo
	s_delay_alu instid0(VALU_DEP_1) | instskip(NEXT) | instid1(VALU_DEP_1)
	v_min_i32_e32 v11, s21, v3
	v_add_nc_u32_e32 v12, v11, v10
	v_cmpx_lt_i32_e32 0, v11
	s_cbranch_execz .LBB2_231
; %bb.222:                              ;   in Loop: Header=BB2_221 Depth=1
	v_mov_b64_e32 v[14:15], v[8:9]
	v_mov_b64_e32 v[16:17], v[6:7]
	v_mov_b32_e32 v18, v10
	s_mov_b32 s12, 0
	s_branch .LBB2_224
.LBB2_223:                              ;   in Loop: Header=BB2_224 Depth=2
	s_or_b32 exec_lo, exec_lo, s13
	v_add_nc_u32_e32 v18, 1, v18
	v_add_nc_u64_e32 v[16:17], 4, v[16:17]
	v_add_nc_u64_e32 v[14:15], 4, v[14:15]
	s_delay_alu instid0(VALU_DEP_3) | instskip(SKIP_1) | instid1(SALU_CYCLE_1)
	v_cmp_ge_i32_e64 s0, v18, v12
	s_or_b32 s12, s0, s12
	s_and_not1_b32 exec_lo, exec_lo, s12
	s_cbranch_execz .LBB2_231
.LBB2_224:                              ;   Parent Loop BB2_221 Depth=1
                                        ; =>  This Loop Header: Depth=2
                                        ;       Child Loop BB2_227 Depth 3
                                        ;         Child Loop BB2_229 Depth 4
	s_delay_alu instid0(VALU_DEP_1) | instskip(SKIP_1) | instid1(VALU_DEP_1)
	v_sub_nc_u32_e32 v13, v12, v18
	s_mov_b32 s13, exec_lo
	v_cmpx_lt_i32_e64 v0, v13
	s_cbranch_execz .LBB2_223
; %bb.225:                              ;   in Loop: Header=BB2_224 Depth=2
	v_mul_lo_u32 v22, v18, s19
	v_dual_mov_b32 v4, v0 :: v_dual_ashrrev_i32 v19, 31, v18
	v_mov_b64_e32 v[20:21], v[14:15]
	s_mov_b32 s14, 0
	s_delay_alu instid0(VALU_DEP_2) | instskip(NEXT) | instid1(VALU_DEP_4)
	v_lshl_add_u64 v[24:25], v[18:19], 2, s[8:9]
	v_ashrrev_i32_e32 v23, 31, v22
	s_delay_alu instid0(VALU_DEP_1)
	v_lshl_add_u64 v[22:23], v[22:23], 2, v[24:25]
	s_branch .LBB2_227
.LBB2_226:                              ;   in Loop: Header=BB2_227 Depth=3
	s_or_b32 exec_lo, exec_lo, s15
	v_lshl_add_u64 v[24:25], v[4:5], 2, v[22:23]
	v_add_nc_u64_e32 v[20:21], 0x400, v[20:21]
	global_load_b32 v26, v[24:25], off
	s_wait_loadcnt 0x0
	v_dual_sub_f32 v19, v26, v19 :: v_dual_add_nc_u32 v4, 0x100, v4
	s_delay_alu instid0(VALU_DEP_1)
	v_cmp_ge_i32_e64 s0, v4, v13
	global_store_b32 v[24:25], v19, off
	s_or_b32 s14, s0, s14
	s_wait_xcnt 0x0
	s_and_not1_b32 exec_lo, exec_lo, s14
	s_cbranch_execz .LBB2_223
.LBB2_227:                              ;   Parent Loop BB2_221 Depth=1
                                        ;     Parent Loop BB2_224 Depth=2
                                        ; =>    This Loop Header: Depth=3
                                        ;         Child Loop BB2_229 Depth 4
	v_mov_b32_e32 v19, 0
	s_and_saveexec_b32 s15, vcc_lo
	s_cbranch_execz .LBB2_226
; %bb.228:                              ;   in Loop: Header=BB2_227 Depth=3
	v_mov_b64_e32 v[24:25], v[20:21]
	v_mov_b64_e32 v[26:27], v[16:17]
	v_dual_mov_b32 v19, 0 :: v_dual_mov_b32 v28, v2
	s_mov_b32 s18, 0
.LBB2_229:                              ;   Parent Loop BB2_221 Depth=1
                                        ;     Parent Loop BB2_224 Depth=2
                                        ;       Parent Loop BB2_227 Depth=3
                                        ; =>      This Inner Loop Header: Depth=4
	global_load_b32 v29, v[24:25], off
	global_load_b32 v30, v[26:27], off
	v_add_nc_u32_e32 v28, -1, v28
	s_wait_xcnt 0x0
	v_add_nc_u64_e32 v[26:27], s[4:5], v[26:27]
	v_add_nc_u64_e32 v[24:25], s[6:7], v[24:25]
	s_wait_loadcnt 0x0
	v_fmac_f32_e32 v19, v29, v30
	v_cmp_eq_u32_e64 s0, 0, v28
	s_or_b32 s18, s0, s18
	s_delay_alu instid0(SALU_CYCLE_1)
	s_and_not1_b32 exec_lo, exec_lo, s18
	s_cbranch_execnz .LBB2_229
; %bb.230:                              ;   in Loop: Header=BB2_227 Depth=3
	s_or_b32 exec_lo, exec_lo, s18
	s_branch .LBB2_226
.LBB2_231:                              ;   in Loop: Header=BB2_221 Depth=1
	s_or_b32 exec_lo, exec_lo, s11
	s_delay_alu instid0(SALU_CYCLE_1)
	s_mov_b32 s11, exec_lo
	v_cmpx_gt_i32_e64 s20, v12
	s_cbranch_execz .LBB2_220
; %bb.232:                              ;   in Loop: Header=BB2_221 Depth=1
	v_sub_nc_u32_e32 v3, v3, v11
	s_delay_alu instid0(VALU_DEP_1) | instskip(NEXT) | instid1(VALU_DEP_1)
	v_mul_lo_u32 v24, v3, v11
	v_cmp_lt_i32_e64 s0, v0, v24
	s_and_b32 exec_lo, exec_lo, s0
	s_cbranch_execz .LBB2_220
; %bb.233:                              ;   in Loop: Header=BB2_221 Depth=1
	v_sub_nc_u32_e32 v4, 0, v3
	v_mul_lo_u32 v18, v10, s19
	v_ashrrev_i32_e32 v13, 31, v12
	s_mov_b32 s12, 0
	s_delay_alu instid0(VALU_DEP_3) | instskip(NEXT) | instid1(VALU_DEP_1)
	v_dual_ashrrev_i32 v26, 31, v3 :: v_dual_max_i32 v25, v3, v4
	v_cvt_f32_u32_e32 v4, v25
	s_delay_alu instid0(VALU_DEP_4) | instskip(NEXT) | instid1(VALU_DEP_2)
	v_ashrrev_i32_e32 v19, 31, v18
	v_rcp_iflag_f32_e32 v4, v4
	v_nop
	s_delay_alu instid0(TRANS32_DEP_1) | instskip(NEXT) | instid1(VALU_DEP_1)
	v_dual_mul_f32 v4, 0x4f7ffffe, v4 :: v_dual_sub_nc_u32 v11, 0, v25
	v_cvt_u32_f32_e32 v4, v4
	s_delay_alu instid0(VALU_DEP_1) | instskip(NEXT) | instid1(VALU_DEP_1)
	v_mul_lo_u32 v11, v11, v4
	v_mul_hi_u32 v14, v4, v11
	v_ashrrev_i32_e32 v11, 31, v10
	v_lshl_add_u64 v[12:13], v[12:13], 2, s[8:9]
	v_mov_b32_e32 v15, v5
	s_delay_alu instid0(VALU_DEP_3) | instskip(NEXT) | instid1(VALU_DEP_3)
	v_lshl_add_u64 v[16:17], v[10:11], 2, s[22:23]
	v_lshl_add_u64 v[18:19], v[18:19], 2, v[12:13]
	v_add_nc_u32_e32 v14, v4, v14
	v_mov_b32_e32 v4, v0
	s_branch .LBB2_235
.LBB2_234:                              ;   in Loop: Header=BB2_235 Depth=2
	s_or_b32 exec_lo, exec_lo, s13
	s_delay_alu instid0(VALU_DEP_1) | instskip(SKIP_1) | instid1(VALU_DEP_1)
	v_mad_u32 v20, v27, s19, v28
	v_add_nc_u32_e32 v4, 0x100, v4
	v_cmp_ge_i32_e64 s0, v4, v24
	s_or_b32 s12, s0, s12
	v_ashrrev_i32_e32 v21, 31, v20
	s_delay_alu instid0(VALU_DEP_1)
	v_lshl_add_u64 v[20:21], v[20:21], 2, v[18:19]
	global_load_b32 v22, v[20:21], off
	s_wait_loadcnt 0x0
	v_sub_f32_e32 v11, v22, v11
	global_store_b32 v[20:21], v11, off
	s_wait_xcnt 0x0
	s_and_not1_b32 exec_lo, exec_lo, s12
	s_cbranch_execz .LBB2_220
.LBB2_235:                              ;   Parent Loop BB2_221 Depth=1
                                        ; =>  This Loop Header: Depth=2
                                        ;       Child Loop BB2_237 Depth 3
	s_delay_alu instid0(VALU_DEP_1) | instskip(NEXT) | instid1(VALU_DEP_1)
	v_mul_u64_e32 v[20:21], v[4:5], v[14:15]
	v_mul_lo_u32 v11, v21, v25
	s_delay_alu instid0(VALU_DEP_1) | instskip(NEXT) | instid1(VALU_DEP_1)
	v_dual_add_nc_u32 v20, 1, v21 :: v_dual_sub_nc_u32 v11, v4, v11
	v_cmp_ge_u32_e64 s0, v11, v25
	s_delay_alu instid0(VALU_DEP_1) | instskip(NEXT) | instid1(VALU_DEP_1)
	v_dual_sub_nc_u32 v22, v11, v25 :: v_dual_cndmask_b32 v20, v21, v20, s0
	v_dual_cndmask_b32 v11, v11, v22, s0 :: v_dual_add_nc_u32 v21, 1, v20
	s_delay_alu instid0(VALU_DEP_1) | instskip(NEXT) | instid1(VALU_DEP_1)
	v_cmp_ge_u32_e64 s0, v11, v25
	v_cndmask_b32_e64 v11, v20, v21, s0
	s_delay_alu instid0(VALU_DEP_1) | instskip(NEXT) | instid1(VALU_DEP_1)
	v_xor_b32_e32 v11, v11, v26
	v_sub_nc_u32_e32 v27, v11, v26
	s_delay_alu instid0(VALU_DEP_1) | instskip(NEXT) | instid1(VALU_DEP_1)
	v_mul_lo_u32 v11, v27, v3
	v_dual_mov_b32 v11, 0 :: v_dual_sub_nc_u32 v28, v4, v11
	s_and_saveexec_b32 s13, vcc_lo
	s_cbranch_execz .LBB2_234
; %bb.236:                              ;   in Loop: Header=BB2_235 Depth=2
	s_delay_alu instid0(VALU_DEP_1)
	v_dual_mov_b32 v11, 0 :: v_dual_mov_b32 v20, v28
	v_dual_mov_b32 v22, v27 :: v_dual_mov_b32 v29, v2
	s_mov_b32 s14, 0
.LBB2_237:                              ;   Parent Loop BB2_221 Depth=1
                                        ;     Parent Loop BB2_235 Depth=2
                                        ; =>    This Inner Loop Header: Depth=3
	s_delay_alu instid0(VALU_DEP_1) | instskip(NEXT) | instid1(VALU_DEP_2)
	v_dual_ashrrev_i32 v21, 31, v20 :: v_dual_ashrrev_i32 v23, 31, v22
	v_add_nc_u32_e32 v29, -1, v29
	s_delay_alu instid0(VALU_DEP_2) | instskip(NEXT) | instid1(VALU_DEP_3)
	v_lshl_add_u64 v[30:31], v[20:21], 2, v[12:13]
	v_lshl_add_u64 v[32:33], v[22:23], 2, v[16:17]
	v_add_nc_u32_e32 v22, s20, v22
	s_delay_alu instid0(VALU_DEP_4)
	v_cmp_eq_u32_e64 s0, 0, v29
	global_load_b32 v21, v[30:31], off
	global_load_b32 v23, v[32:33], off
	v_add_nc_u32_e32 v20, s19, v20
	s_or_b32 s14, s0, s14
	s_wait_loadcnt 0x0
	v_fmac_f32_e32 v11, v21, v23
	s_wait_xcnt 0x0
	s_and_not1_b32 exec_lo, exec_lo, s14
	s_cbranch_execnz .LBB2_237
; %bb.238:                              ;   in Loop: Header=BB2_235 Depth=2
	s_or_b32 exec_lo, exec_lo, s14
	s_branch .LBB2_234
.LBB2_239:
	s_or_b32 exec_lo, exec_lo, s1
	s_wait_storecnt_dscnt 0x0
	s_barrier_signal -1
	s_barrier_wait -1
	s_mov_b32 s0, exec_lo
	v_cmpx_lt_i32_e32 1, v2
	s_cbranch_execz .LBB2_247
; %bb.240:
	s_lshl_b32 s1, s19, 8
	s_mov_b32 s2, 0
	s_branch .LBB2_243
.LBB2_241:                              ;   in Loop: Header=BB2_243 Depth=1
	s_wait_storecnt 0x0
	s_barrier_signal -1
	s_barrier_wait -1
.LBB2_242:                              ;   in Loop: Header=BB2_243 Depth=1
	s_or_b32 exec_lo, exec_lo, s0
	v_cmp_gt_u32_e32 vcc_lo, 2, v6
	v_mov_b32_e32 v2, v6
	s_or_b32 s2, vcc_lo, s2
	s_delay_alu instid0(SALU_CYCLE_1)
	s_and_not1_b32 exec_lo, exec_lo, s2
	s_cbranch_execz .LBB2_247
.LBB2_243:                              ; =>This Loop Header: Depth=1
                                        ;     Child Loop BB2_246 Depth 2
	s_delay_alu instid0(VALU_DEP_1)
	v_dual_add_nc_u32 v3, -1, v2 :: v_dual_add_nc_u32 v5, -2, v2
	global_load_b32 v4, v3, s[16:17] scale_offset
	s_wait_loadcnt 0x0
	v_not_b32_e32 v6, v4
	v_cmp_gt_i32_e32 vcc_lo, 0, v4
	v_add_nc_u32_e32 v7, -1, v4
	s_delay_alu instid0(VALU_DEP_1) | instskip(SKIP_1) | instid1(VALU_DEP_2)
	v_cndmask_b32_e32 v7, v7, v6, vcc_lo
	v_cndmask_b32_e32 v6, v3, v5, vcc_lo
	v_cmp_ne_u32_e32 vcc_lo, v7, v3
	s_delay_alu instid0(VALU_DEP_2) | instskip(SKIP_1) | instid1(SALU_CYCLE_1)
	v_cmp_ne_u32_e64 s0, 0, v6
	s_and_b32 s3, vcc_lo, s0
	s_and_saveexec_b32 s0, s3
	s_cbranch_execz .LBB2_242
; %bb.244:                              ;   in Loop: Header=BB2_243 Depth=1
	v_cmp_lt_i32_e32 vcc_lo, v0, v6
	s_and_b32 exec_lo, exec_lo, vcc_lo
	s_cbranch_execz .LBB2_241
; %bb.245:                              ;   in Loop: Header=BB2_243 Depth=1
	v_dual_mov_b32 v4, v1 :: v_dual_ashrrev_i32 v3, 31, v2
	v_mov_b32_e32 v8, v0
	s_mov_b32 s3, 0
.LBB2_246:                              ;   Parent Loop BB2_243 Depth=1
                                        ; =>  This Inner Loop Header: Depth=2
	s_delay_alu instid0(VALU_DEP_2) | instskip(NEXT) | instid1(VALU_DEP_2)
	v_ashrrev_i32_e32 v5, 31, v4
	v_add_nc_u32_e32 v8, 0x100, v8
	s_delay_alu instid0(VALU_DEP_2) | instskip(SKIP_1) | instid1(VALU_DEP_3)
	v_add_nc_u64_e32 v[10:11], v[4:5], v[2:3]
	v_add_nc_u32_e32 v5, v7, v4
	v_cmp_ge_i32_e32 vcc_lo, v8, v6
	v_add_nc_u32_e32 v4, s1, v4
	s_or_b32 s3, vcc_lo, s3
	s_delay_alu instid0(VALU_DEP_4)
	v_lshl_add_u64 v[10:11], v[10:11], 2, s[8:9]
	s_clause 0x1
	global_load_b32 v9, v5, s[8:9] scale_offset
	global_load_b32 v12, v[10:11], off offset:-4
	s_wait_loadcnt 0x0
	s_clause 0x1
	global_store_b32 v5, v12, s[8:9] scale_offset
	global_store_b32 v[10:11], v9, off offset:-4
	s_wait_xcnt 0x0
	s_and_not1_b32 exec_lo, exec_lo, s3
	s_cbranch_execnz .LBB2_246
	s_branch .LBB2_241
.LBB2_247:
	s_endpgm
.LBB2_248:
	v_mov_b32_e32 v2, 0
	s_and_saveexec_b32 s0, s2
	s_cbranch_execnz .LBB2_217
	s_branch .LBB2_218
	.section	.rodata,"a",@progbits
	.p2align	6, 0x0
	.amdhsa_kernel _ZN9rocsolver6v33100L18lasyf_kernel_lowerIfPfEEviiPiT0_iilS3_lS3_PT_
		.amdhsa_group_segment_fixed_size 2068
		.amdhsa_private_segment_fixed_size 0
		.amdhsa_kernarg_size 72
		.amdhsa_user_sgpr_count 2
		.amdhsa_user_sgpr_dispatch_ptr 0
		.amdhsa_user_sgpr_queue_ptr 0
		.amdhsa_user_sgpr_kernarg_segment_ptr 1
		.amdhsa_user_sgpr_dispatch_id 0
		.amdhsa_user_sgpr_kernarg_preload_length 0
		.amdhsa_user_sgpr_kernarg_preload_offset 0
		.amdhsa_user_sgpr_private_segment_size 0
		.amdhsa_wavefront_size32 1
		.amdhsa_uses_dynamic_stack 0
		.amdhsa_enable_private_segment 0
		.amdhsa_system_sgpr_workgroup_id_x 1
		.amdhsa_system_sgpr_workgroup_id_y 1
		.amdhsa_system_sgpr_workgroup_id_z 0
		.amdhsa_system_sgpr_workgroup_info 0
		.amdhsa_system_vgpr_workitem_id 0
		.amdhsa_next_free_vgpr 44
		.amdhsa_next_free_sgpr 57
		.amdhsa_named_barrier_count 0
		.amdhsa_reserve_vcc 1
		.amdhsa_float_round_mode_32 0
		.amdhsa_float_round_mode_16_64 0
		.amdhsa_float_denorm_mode_32 3
		.amdhsa_float_denorm_mode_16_64 3
		.amdhsa_fp16_overflow 0
		.amdhsa_memory_ordered 1
		.amdhsa_forward_progress 1
		.amdhsa_inst_pref_size 76
		.amdhsa_round_robin_scheduling 0
		.amdhsa_exception_fp_ieee_invalid_op 0
		.amdhsa_exception_fp_denorm_src 0
		.amdhsa_exception_fp_ieee_div_zero 0
		.amdhsa_exception_fp_ieee_overflow 0
		.amdhsa_exception_fp_ieee_underflow 0
		.amdhsa_exception_fp_ieee_inexact 0
		.amdhsa_exception_int_div_zero 0
	.end_amdhsa_kernel
	.section	.text._ZN9rocsolver6v33100L18lasyf_kernel_lowerIfPfEEviiPiT0_iilS3_lS3_PT_,"axG",@progbits,_ZN9rocsolver6v33100L18lasyf_kernel_lowerIfPfEEviiPiT0_iilS3_lS3_PT_,comdat
.Lfunc_end2:
	.size	_ZN9rocsolver6v33100L18lasyf_kernel_lowerIfPfEEviiPiT0_iilS3_lS3_PT_, .Lfunc_end2-_ZN9rocsolver6v33100L18lasyf_kernel_lowerIfPfEEviiPiT0_iilS3_lS3_PT_
                                        ; -- End function
	.set _ZN9rocsolver6v33100L18lasyf_kernel_lowerIfPfEEviiPiT0_iilS3_lS3_PT_.num_vgpr, 44
	.set _ZN9rocsolver6v33100L18lasyf_kernel_lowerIfPfEEviiPiT0_iilS3_lS3_PT_.num_agpr, 0
	.set _ZN9rocsolver6v33100L18lasyf_kernel_lowerIfPfEEviiPiT0_iilS3_lS3_PT_.numbered_sgpr, 57
	.set _ZN9rocsolver6v33100L18lasyf_kernel_lowerIfPfEEviiPiT0_iilS3_lS3_PT_.num_named_barrier, 0
	.set _ZN9rocsolver6v33100L18lasyf_kernel_lowerIfPfEEviiPiT0_iilS3_lS3_PT_.private_seg_size, 0
	.set _ZN9rocsolver6v33100L18lasyf_kernel_lowerIfPfEEviiPiT0_iilS3_lS3_PT_.uses_vcc, 1
	.set _ZN9rocsolver6v33100L18lasyf_kernel_lowerIfPfEEviiPiT0_iilS3_lS3_PT_.uses_flat_scratch, 0
	.set _ZN9rocsolver6v33100L18lasyf_kernel_lowerIfPfEEviiPiT0_iilS3_lS3_PT_.has_dyn_sized_stack, 0
	.set _ZN9rocsolver6v33100L18lasyf_kernel_lowerIfPfEEviiPiT0_iilS3_lS3_PT_.has_recursion, 0
	.set _ZN9rocsolver6v33100L18lasyf_kernel_lowerIfPfEEviiPiT0_iilS3_lS3_PT_.has_indirect_call, 0
	.section	.AMDGPU.csdata,"",@progbits
; Kernel info:
; codeLenInByte = 9632
; TotalNumSgprs: 59
; NumVgprs: 44
; ScratchSize: 0
; MemoryBound: 0
; FloatMode: 240
; IeeeMode: 1
; LDSByteSize: 2068 bytes/workgroup (compile time only)
; SGPRBlocks: 0
; VGPRBlocks: 2
; NumSGPRsForWavesPerEU: 59
; NumVGPRsForWavesPerEU: 44
; NamedBarCnt: 0
; Occupancy: 16
; WaveLimiterHint : 1
; COMPUTE_PGM_RSRC2:SCRATCH_EN: 0
; COMPUTE_PGM_RSRC2:USER_SGPR: 2
; COMPUTE_PGM_RSRC2:TRAP_HANDLER: 0
; COMPUTE_PGM_RSRC2:TGID_X_EN: 1
; COMPUTE_PGM_RSRC2:TGID_Y_EN: 1
; COMPUTE_PGM_RSRC2:TGID_Z_EN: 0
; COMPUTE_PGM_RSRC2:TIDIG_COMP_CNT: 0
	.section	.text._ZN9rocsolver6v33100L18lasyf_kernel_upperIdPdEEviiPiT0_iilS3_lS3_PT_,"axG",@progbits,_ZN9rocsolver6v33100L18lasyf_kernel_upperIdPdEEviiPiT0_iilS3_lS3_PT_,comdat
	.globl	_ZN9rocsolver6v33100L18lasyf_kernel_upperIdPdEEviiPiT0_iilS3_lS3_PT_ ; -- Begin function _ZN9rocsolver6v33100L18lasyf_kernel_upperIdPdEEviiPiT0_iilS3_lS3_PT_
	.p2align	8
	.type	_ZN9rocsolver6v33100L18lasyf_kernel_upperIdPdEEviiPiT0_iilS3_lS3_PT_,@function
_ZN9rocsolver6v33100L18lasyf_kernel_upperIdPdEEviiPiT0_iilS3_lS3_PT_: ; @_ZN9rocsolver6v33100L18lasyf_kernel_upperIdPdEEviiPiT0_iilS3_lS3_PT_
; %bb.0:
	v_cmp_eq_u32_e64 s2, 0, v0
	s_and_saveexec_b32 s3, s2
; %bb.1:
	v_mov_b32_e32 v1, 0
	ds_store_b32 v1, v1 offset:3100
; %bb.2:
	s_or_b32 exec_lo, exec_lo, s3
	s_clause 0x4
	s_load_b64 s[16:17], s[0:1], 0x18
	s_load_b64 s[18:19], s[0:1], 0x0
	s_load_b256 s[4:11], s[0:1], 0x20
	s_load_b128 s[12:15], s[0:1], 0x8
	s_load_b64 s[22:23], s[0:1], 0x40
	s_wait_xcnt 0x0
	s_bfe_u32 s0, ttmp6, 0x40010
	s_bfe_u32 s1, ttmp6, 0x40004
	s_add_co_i32 s0, s0, 1
	s_getreg_b32 s3, hwreg(HW_REG_IB_STS2, 6, 4)
	s_mul_i32 s0, ttmp7, s0
	v_dual_lshlrev_b32 v6, 3, v0 :: v_dual_add_nc_u32 v1, 1, v0
	s_add_co_i32 s0, s1, s0
	s_wait_kmcnt 0x0
	s_ashr_i32 s21, s16, 31
	s_cmp_eq_u32 s3, 0
	s_mov_b32 s20, s16
	s_cselect_b32 s30, ttmp7, s0
	s_lshl_b64 s[24:25], s[20:21], 3
	s_ashr_i32 s31, s30, 31
	s_mul_i32 s0, s18, s30
	s_mul_u64 s[4:5], s[4:5], s[30:31]
	s_mul_u64 s[8:9], s[8:9], s[30:31]
	s_lshl_b64 s[26:27], s[4:5], 3
	s_mul_i32 s28, s0, s19
	s_add_co_i32 s16, s18, -1
	s_lshl_b64 s[4:5], s[8:9], 2
	s_add_nc_u64 s[20:21], s[14:15], s[26:27]
	s_ashr_i32 s29, s28, 31
	s_mov_b32 s1, s19
	s_cmp_lt_i32 s16, 0
	s_add_nc_u64 s[8:9], s[6:7], s[4:5]
	s_add_nc_u64 s[20:21], s[20:21], s[24:25]
	s_mov_b32 s34, s16
	s_cbranch_scc1 .LBB3_219
; %bb.3:
	v_dual_mov_b32 v7, 0 :: v_dual_add_nc_u32 v2, s19, v0
	s_lshl_b64 s[0:1], s[28:29], 3
	s_add_nc_u64 s[4:5], s[26:27], s[24:25]
	s_add_nc_u64 s[36:37], s[22:23], s[0:1]
	s_sub_co_i32 s33, s19, s18
	v_add_nc_u64_e32 v[8:9], s[36:37], v[6:7]
	v_subrev_nc_u32_e32 v2, s18, v2
	s_add_co_i32 s56, s19, -1
	s_sub_co_i32 s50, s18, s19
	s_add_nc_u64 s[38:39], s[14:15], s[4:5]
	s_cmp_eq_u32 s19, s18
	v_add_nc_u64_e32 v[10:11], s[38:39], v[6:7]
	v_add_nc_u64_e32 v[12:13], 8, v[8:9]
	s_cselect_b32 s6, -1, 0
	s_ashr_i32 s5, s18, 31
	s_mov_b32 s4, s18
	v_lshl_or_b32 v24, v0, 2, 0x800
	v_cmp_gt_u32_e64 s0, 0x80, v0
	v_cmp_gt_u32_e64 s1, 64, v0
	;; [unrolled: 1-line block ×3, first 2 shown]
	v_add_nc_u32_e32 v25, 1, v2
	s_lshl_b64 s[40:41], s[4:5], 3
	s_ashr_i32 s5, s17, 31
	s_mov_b32 s4, s17
	s_add_co_i32 s51, s17, 1
	s_lshl_b32 s52, s18, 1
	s_lshl_b64 s[42:43], s[4:5], 3
	s_lshl_b32 s53, s17, 8
	s_lshl_b32 s54, s18, 8
	s_mov_b32 s35, 0
	s_xor_b32 s55, s6, -1
	s_mov_b32 s34, s16
	s_branch .LBB3_6
.LBB3_4:                                ;   in Loop: Header=BB3_6 Depth=1
	s_wait_xcnt 0x0
	s_or_b32 exec_lo, exec_lo, s44
	s_add_co_i32 s34, s6, s34
	s_delay_alu instid0(SALU_CYCLE_1)
	s_add_co_i32 s56, s34, s33
	s_cmp_lt_i32 s34, 0
	s_cselect_b32 s4, -1, 0
.LBB3_5:                                ;   in Loop: Header=BB3_6 Depth=1
	s_delay_alu instid0(SALU_CYCLE_1)
	s_and_b32 vcc_lo, exec_lo, s4
	s_cbranch_vccnz .LBB3_218
.LBB3_6:                                ; =>This Loop Header: Depth=1
                                        ;     Child Loop BB3_9 Depth 2
                                        ;     Child Loop BB3_16 Depth 2
                                        ;       Child Loop BB3_18 Depth 3
                                        ;     Child Loop BB3_22 Depth 2
                                        ;     Child Loop BB3_67 Depth 2
	;; [unrolled: 1-line block ×4, first 2 shown]
                                        ;       Child Loop BB3_79 Depth 3
                                        ;     Child Loop BB3_84 Depth 2
                                        ;     Child Loop BB3_128 Depth 2
	;; [unrolled: 1-line block ×9, first 2 shown]
	s_cmp_le_i32 s34, s50
	s_cselect_b32 s4, -1, 0
	s_delay_alu instid0(SALU_CYCLE_1) | instskip(NEXT) | instid1(SALU_CYCLE_1)
	s_and_b32 s4, s55, s4
	s_and_b32 vcc_lo, exec_lo, s4
	s_mov_b32 s4, -1
	s_cbranch_vccnz .LBB3_5
; %bb.7:                                ;   in Loop: Header=BB3_6 Depth=1
	v_cmp_ge_i32_e64 s5, s34, v0
	s_and_saveexec_b32 s4, s5
	s_cbranch_execz .LBB3_10
; %bb.8:                                ;   in Loop: Header=BB3_6 Depth=1
	v_mad_u32 v2, s56, s18, v0
	v_mad_u32 v4, s34, s17, v0
	v_mov_b32_e32 v14, v0
	s_mov_b32 s6, 0
	s_delay_alu instid0(VALU_DEP_2) | instskip(NEXT) | instid1(VALU_DEP_1)
	v_dual_ashrrev_i32 v3, 31, v2 :: v_dual_ashrrev_i32 v5, 31, v4
	v_lshl_add_u64 v[2:3], v[2:3], 3, s[36:37]
	s_delay_alu instid0(VALU_DEP_2)
	v_lshl_add_u64 v[4:5], v[4:5], 3, s[38:39]
.LBB3_9:                                ;   Parent Loop BB3_6 Depth=1
                                        ; =>  This Inner Loop Header: Depth=2
	global_load_b64 v[16:17], v[4:5], off
	v_add_nc_u32_e32 v14, 0x100, v14
	s_wait_xcnt 0x0
	v_add_nc_u64_e32 v[4:5], 0x800, v[4:5]
	s_delay_alu instid0(VALU_DEP_2)
	v_cmp_lt_i32_e32 vcc_lo, s34, v14
	s_or_b32 s6, vcc_lo, s6
	s_wait_loadcnt 0x0
	global_store_b64 v[2:3], v[16:17], off
	s_wait_xcnt 0x0
	v_add_nc_u64_e32 v[2:3], 0x800, v[2:3]
	s_and_not1_b32 exec_lo, exec_lo, s6
	s_cbranch_execnz .LBB3_9
.LBB3_10:                               ;   in Loop: Header=BB3_6 Depth=1
	s_or_b32 exec_lo, exec_lo, s4
	s_cmp_ge_i32 s34, s16
	s_mov_b32 s4, -1
	s_cselect_b32 s57, -1, 0
	s_cmp_lt_i32 s34, s16
	s_wait_storecnt_dscnt 0x0
	s_barrier_signal -1
	s_barrier_wait -1
                                        ; implicit-def: $sgpr44
	s_cbranch_scc1 .LBB3_12
; %bb.11:                               ;   in Loop: Header=BB3_6 Depth=1
	s_mul_i32 s44, s56, s18
	s_mov_b32 s4, 0
	s_ashr_i32 s45, s44, 31
.LBB3_12:                               ;   in Loop: Header=BB3_6 Depth=1
	s_and_not1_b32 vcc_lo, exec_lo, s4
	s_cbranch_vccnz .LBB3_20
; %bb.13:                               ;   in Loop: Header=BB3_6 Depth=1
	s_mul_i32 s44, s56, s18
	s_delay_alu instid0(SALU_CYCLE_1)
	s_ashr_i32 s45, s44, 31
	s_and_saveexec_b32 s4, s5
	s_cbranch_execz .LBB3_19
; %bb.14:                               ;   in Loop: Header=BB3_6 Depth=1
	s_not_b32 s6, s34
	s_add_co_i32 s7, s34, 1
	s_add_co_i32 s46, s56, 1
	;; [unrolled: 1-line block ×3, first 2 shown]
	s_mul_i32 s6, s7, s17
	s_mul_i32 s46, s46, s18
	s_ashr_i32 s7, s6, 31
	s_ashr_i32 s47, s46, 31
	s_lshl_b64 s[48:49], s[34:35], 3
	s_lshl_b64 s[46:47], s[46:47], 3
	;; [unrolled: 1-line block ×3, first 2 shown]
	v_lshl_add_u64 v[2:3], s[6:7], 3, v[10:11]
	v_mov_b32_e32 v16, v0
	s_add_nc_u64 s[48:49], s[36:37], s[48:49]
	s_cmp_gt_i32 s58, 0
	s_add_nc_u64 s[6:7], s[48:49], s[46:47]
	s_cselect_b32 s59, -1, 0
	s_add_nc_u64 s[46:47], s[36:37], s[60:61]
	s_mov_b32 s60, 0
	s_branch .LBB3_16
.LBB3_15:                               ;   in Loop: Header=BB3_16 Depth=2
	global_load_b64 v[14:15], v16, s[46:47] scale_offset
	v_add_nc_u64_e32 v[2:3], 0x800, v[2:3]
	s_wait_loadcnt 0x0
	v_add_f64_e64 v[4:5], v[14:15], -v[4:5]
	global_store_b64 v16, v[4:5], s[46:47] scale_offset
	s_wait_xcnt 0x0
	v_add_nc_u32_e32 v16, 0x100, v16
	s_delay_alu instid0(VALU_DEP_1) | instskip(SKIP_1) | instid1(SALU_CYCLE_1)
	v_cmp_lt_i32_e32 vcc_lo, s34, v16
	s_or_b32 s60, vcc_lo, s60
	s_and_not1_b32 exec_lo, exec_lo, s60
	s_cbranch_execz .LBB3_19
.LBB3_16:                               ;   Parent Loop BB3_6 Depth=1
                                        ; =>  This Loop Header: Depth=2
                                        ;       Child Loop BB3_18 Depth 3
	v_mov_b64_e32 v[4:5], 0
	s_and_not1_b32 vcc_lo, exec_lo, s59
	s_cbranch_vccnz .LBB3_15
; %bb.17:                               ;   in Loop: Header=BB3_16 Depth=2
	v_mov_b64_e32 v[14:15], v[2:3]
	s_mov_b64 s[48:49], s[6:7]
	s_mov_b32 s61, s58
.LBB3_18:                               ;   Parent Loop BB3_6 Depth=1
                                        ;     Parent Loop BB3_16 Depth=2
                                        ; =>    This Inner Loop Header: Depth=3
	global_load_b64 v[18:19], v[14:15], off
	global_load_b64 v[20:21], v7, s[48:49]
	s_wait_xcnt 0x1
	v_add_nc_u64_e32 v[14:15], s[42:43], v[14:15]
	s_add_co_i32 s61, s61, -1
	s_wait_xcnt 0x0
	s_add_nc_u64 s[48:49], s[48:49], s[40:41]
	s_cmp_eq_u32 s61, 0
	s_wait_loadcnt 0x0
	v_fmac_f64_e32 v[4:5], v[18:19], v[20:21]
	s_cbranch_scc0 .LBB3_18
	s_branch .LBB3_15
.LBB3_19:                               ;   in Loop: Header=BB3_6 Depth=1
	s_or_b32 exec_lo, exec_lo, s4
	s_wait_storecnt 0x0
	s_barrier_signal -1
	s_barrier_wait -1
.LBB3_20:                               ;   in Loop: Header=BB3_6 Depth=1
	v_mov_b64_e32 v[2:3], 0
	v_cmp_gt_i32_e64 s4, s34, v0
	v_bfrev_b32_e32 v14, -2
	s_and_saveexec_b32 s7, s4
	s_cbranch_execz .LBB3_24
; %bb.21:                               ;   in Loop: Header=BB3_6 Depth=1
	v_mov_b64_e32 v[2:3], 0
	v_lshl_add_u64 v[4:5], s[44:45], 3, v[8:9]
	v_bfrev_b32_e32 v14, -2
	v_mov_b32_e32 v15, v0
	s_mov_b32 s45, 0
.LBB3_22:                               ;   Parent Loop BB3_6 Depth=1
                                        ; =>  This Inner Loop Header: Depth=2
	global_load_b64 v[16:17], v[4:5], off
	v_cmp_eq_u32_e32 vcc_lo, 0x7fffffff, v14
	s_wait_xcnt 0x0
	v_add_nc_u64_e32 v[4:5], 0x800, v[4:5]
	s_wait_loadcnt 0x0
	v_cmp_lt_f64_e64 s46, v[2:3], |v[16:17]|
	v_and_b32_e32 v17, 0x7fffffff, v17
	s_or_b32 vcc_lo, s46, vcc_lo
	s_delay_alu instid0(VALU_DEP_1) | instskip(SKIP_1) | instid1(VALU_DEP_2)
	v_dual_cndmask_b32 v3, v3, v17 :: v_dual_add_nc_u32 v18, 1, v15
	v_dual_cndmask_b32 v2, v2, v16 :: v_dual_add_nc_u32 v15, 0x100, v15
	v_cndmask_b32_e32 v14, v14, v18, vcc_lo
	s_delay_alu instid0(VALU_DEP_2) | instskip(SKIP_1) | instid1(SALU_CYCLE_1)
	v_cmp_le_i32_e64 s6, s34, v15
	s_or_b32 s45, s6, s45
	s_and_not1_b32 exec_lo, exec_lo, s45
	s_cbranch_execnz .LBB3_22
; %bb.23:                               ;   in Loop: Header=BB3_6 Depth=1
	s_or_b32 exec_lo, exec_lo, s45
.LBB3_24:                               ;   in Loop: Header=BB3_6 Depth=1
	s_delay_alu instid0(SALU_CYCLE_1)
	s_or_b32 exec_lo, exec_lo, s7
	s_cmp_lt_i32 s34, 2
	ds_store_b64 v6, v[2:3]
	ds_store_b32 v24, v14
	s_wait_dscnt 0x0
	s_barrier_signal -1
	s_barrier_wait -1
	s_cbranch_scc1 .LBB3_61
; %bb.25:                               ;   in Loop: Header=BB3_6 Depth=1
	s_and_saveexec_b32 s7, s0
	s_cbranch_execz .LBB3_31
; %bb.26:                               ;   in Loop: Header=BB3_6 Depth=1
	ds_load_b64 v[4:5], v6 offset:1024
	ds_load_b32 v15, v24 offset:512
	s_mov_b32 s46, exec_lo
	s_wait_dscnt 0x1
	v_cmp_lt_f64_e64 s45, v[2:3], v[4:5]
	v_cmpx_nlt_f64_e32 v[2:3], v[4:5]
	s_cbranch_execz .LBB3_28
; %bb.27:                               ;   in Loop: Header=BB3_6 Depth=1
	v_cmp_eq_f64_e32 vcc_lo, v[2:3], v[4:5]
	s_wait_dscnt 0x0
	v_cmp_gt_i32_e64 s6, v14, v15
	s_and_not1_b32 s45, s45, exec_lo
	s_and_b32 s6, vcc_lo, s6
	s_delay_alu instid0(SALU_CYCLE_1) | instskip(NEXT) | instid1(SALU_CYCLE_1)
	s_and_b32 s6, s6, exec_lo
	s_or_b32 s45, s45, s6
.LBB3_28:                               ;   in Loop: Header=BB3_6 Depth=1
	s_or_b32 exec_lo, exec_lo, s46
	s_and_saveexec_b32 s6, s45
	s_cbranch_execz .LBB3_30
; %bb.29:                               ;   in Loop: Header=BB3_6 Depth=1
	v_mov_b64_e32 v[2:3], v[4:5]
	s_wait_dscnt 0x0
	v_mov_b32_e32 v14, v15
	ds_store_b64 v6, v[4:5]
	ds_store_b32 v24, v15
.LBB3_30:                               ;   in Loop: Header=BB3_6 Depth=1
	s_or_b32 exec_lo, exec_lo, s6
.LBB3_31:                               ;   in Loop: Header=BB3_6 Depth=1
	s_delay_alu instid0(SALU_CYCLE_1)
	s_or_b32 exec_lo, exec_lo, s7
	s_wait_dscnt 0x0
	s_barrier_signal -1
	s_barrier_wait -1
	s_and_saveexec_b32 s7, s1
	s_cbranch_execz .LBB3_37
; %bb.32:                               ;   in Loop: Header=BB3_6 Depth=1
	ds_load_b64 v[4:5], v6 offset:512
	ds_load_b32 v15, v24 offset:256
	s_mov_b32 s46, exec_lo
	s_wait_dscnt 0x1
	v_cmp_lt_f64_e64 s45, v[2:3], v[4:5]
	v_cmpx_nlt_f64_e32 v[2:3], v[4:5]
	s_cbranch_execz .LBB3_34
; %bb.33:                               ;   in Loop: Header=BB3_6 Depth=1
	v_cmp_eq_f64_e32 vcc_lo, v[2:3], v[4:5]
	s_wait_dscnt 0x0
	v_cmp_gt_i32_e64 s6, v14, v15
	s_and_not1_b32 s45, s45, exec_lo
	s_and_b32 s6, vcc_lo, s6
	s_delay_alu instid0(SALU_CYCLE_1) | instskip(NEXT) | instid1(SALU_CYCLE_1)
	s_and_b32 s6, s6, exec_lo
	s_or_b32 s45, s45, s6
.LBB3_34:                               ;   in Loop: Header=BB3_6 Depth=1
	s_or_b32 exec_lo, exec_lo, s46
	s_and_saveexec_b32 s6, s45
	s_cbranch_execz .LBB3_36
; %bb.35:                               ;   in Loop: Header=BB3_6 Depth=1
	v_mov_b64_e32 v[2:3], v[4:5]
	s_wait_dscnt 0x0
	v_mov_b32_e32 v14, v15
	ds_store_b64 v6, v[4:5]
	ds_store_b32 v24, v15
.LBB3_36:                               ;   in Loop: Header=BB3_6 Depth=1
	s_or_b32 exec_lo, exec_lo, s6
.LBB3_37:                               ;   in Loop: Header=BB3_6 Depth=1
	s_delay_alu instid0(SALU_CYCLE_1)
	s_or_b32 exec_lo, exec_lo, s7
	s_wait_dscnt 0x0
	s_barrier_signal -1
	s_barrier_wait -1
	s_and_saveexec_b32 s45, s3
	s_cbranch_execz .LBB3_60
; %bb.38:                               ;   in Loop: Header=BB3_6 Depth=1
	ds_load_b64 v[4:5], v6 offset:256
	ds_load_b32 v15, v24 offset:128
	s_mov_b32 s46, exec_lo
	s_wait_dscnt 0x1
	v_cmp_lt_f64_e64 s7, v[2:3], v[4:5]
	v_cmpx_nlt_f64_e32 v[2:3], v[4:5]
	s_cbranch_execz .LBB3_40
; %bb.39:                               ;   in Loop: Header=BB3_6 Depth=1
	v_cmp_eq_f64_e32 vcc_lo, v[2:3], v[4:5]
	s_wait_dscnt 0x0
	v_cmp_gt_i32_e64 s6, v14, v15
	s_and_not1_b32 s7, s7, exec_lo
	s_and_b32 s6, vcc_lo, s6
	s_delay_alu instid0(SALU_CYCLE_1) | instskip(NEXT) | instid1(SALU_CYCLE_1)
	s_and_b32 s6, s6, exec_lo
	s_or_b32 s7, s7, s6
.LBB3_40:                               ;   in Loop: Header=BB3_6 Depth=1
	s_or_b32 exec_lo, exec_lo, s46
	s_and_saveexec_b32 s6, s7
	s_cbranch_execz .LBB3_42
; %bb.41:                               ;   in Loop: Header=BB3_6 Depth=1
	v_mov_b64_e32 v[2:3], v[4:5]
	s_wait_dscnt 0x0
	v_mov_b32_e32 v14, v15
	ds_store_b64 v6, v[4:5]
	ds_store_b32 v24, v15
.LBB3_42:                               ;   in Loop: Header=BB3_6 Depth=1
	s_or_b32 exec_lo, exec_lo, s6
	ds_load_b64 v[4:5], v6 offset:128
	s_wait_dscnt 0x1
	ds_load_b32 v15, v24 offset:64
	s_mov_b32 s46, exec_lo
	s_wait_dscnt 0x1
	v_cmp_lt_f64_e64 s7, v[2:3], v[4:5]
	v_cmpx_nlt_f64_e32 v[2:3], v[4:5]
	s_cbranch_execz .LBB3_44
; %bb.43:                               ;   in Loop: Header=BB3_6 Depth=1
	v_cmp_eq_f64_e32 vcc_lo, v[2:3], v[4:5]
	s_wait_dscnt 0x0
	v_cmp_gt_i32_e64 s6, v14, v15
	s_and_not1_b32 s7, s7, exec_lo
	s_and_b32 s6, vcc_lo, s6
	s_delay_alu instid0(SALU_CYCLE_1) | instskip(NEXT) | instid1(SALU_CYCLE_1)
	s_and_b32 s6, s6, exec_lo
	s_or_b32 s7, s7, s6
.LBB3_44:                               ;   in Loop: Header=BB3_6 Depth=1
	s_or_b32 exec_lo, exec_lo, s46
	s_and_saveexec_b32 s6, s7
	s_cbranch_execz .LBB3_46
; %bb.45:                               ;   in Loop: Header=BB3_6 Depth=1
	v_mov_b64_e32 v[2:3], v[4:5]
	s_wait_dscnt 0x0
	v_mov_b32_e32 v14, v15
	ds_store_b64 v6, v[4:5]
	ds_store_b32 v24, v15
.LBB3_46:                               ;   in Loop: Header=BB3_6 Depth=1
	s_or_b32 exec_lo, exec_lo, s6
	ds_load_b64 v[4:5], v6 offset:64
	s_wait_dscnt 0x1
	;; [unrolled: 29-line block ×5, first 2 shown]
	ds_load_b32 v15, v24 offset:4
	s_wait_dscnt 0x1
	v_cmp_eq_f64_e32 vcc_lo, v[2:3], v[4:5]
	v_cmp_lt_f64_e64 s6, v[2:3], v[4:5]
	s_wait_dscnt 0x0
	v_cmp_gt_i32_e64 s7, v14, v15
	s_and_b32 s7, vcc_lo, s7
	s_delay_alu instid0(SALU_CYCLE_1) | instskip(NEXT) | instid1(SALU_CYCLE_1)
	s_or_b32 s6, s6, s7
	s_and_b32 exec_lo, exec_lo, s6
	s_cbranch_execz .LBB3_60
; %bb.59:                               ;   in Loop: Header=BB3_6 Depth=1
	ds_store_b64 v6, v[4:5]
	ds_store_b32 v24, v15
.LBB3_60:                               ;   in Loop: Header=BB3_6 Depth=1
	s_or_b32 exec_lo, exec_lo, s45
.LBB3_61:                               ;   in Loop: Header=BB3_6 Depth=1
	s_and_saveexec_b32 s6, s2
	s_cbranch_execz .LBB3_63
; %bb.62:                               ;   in Loop: Header=BB3_6 Depth=1
	s_add_co_i32 s7, s44, s34
	s_delay_alu instid0(SALU_CYCLE_1)
	v_mov_b32_e32 v2, s7
	global_load_b64 v[2:3], v2, s[36:37] scale_offset
	ds_load_b32 v14, v7 offset:2048
	ds_load_b64 v[4:5], v7
	s_wait_dscnt 0x1
	v_add_nc_u32_e32 v14, -1, v14
	s_wait_loadcnt 0x0
	v_and_b32_e32 v3, 0x7fffffff, v3
	ds_store_b32 v7, v14 offset:3096
	s_wait_dscnt 0x1
	ds_store_b128 v7, v[2:5] offset:3072
.LBB3_63:                               ;   in Loop: Header=BB3_6 Depth=1
	s_or_b32 exec_lo, exec_lo, s6
	s_wait_dscnt 0x0
	s_barrier_signal -1
	s_barrier_wait -1
	ds_load_b128 v[2:5], v7 offset:3072
	s_wait_dscnt 0x0
	v_cmp_lt_f64_e32 vcc_lo, v[2:3], v[4:5]
	v_dual_cndmask_b32 v15, v3, v5 :: v_dual_cndmask_b32 v14, v2, v4
	s_delay_alu instid0(VALU_DEP_1)
	v_cmp_neq_f64_e32 vcc_lo, 0, v[14:15]
	s_cbranch_vccz .LBB3_80
; %bb.64:                               ;   in Loop: Header=BB3_6 Depth=1
	v_mul_f64_e32 v[4:5], 0x3fe47e0f66afed07, v[4:5]
	s_delay_alu instid0(VALU_DEP_1)
	v_cmp_ge_f64_e32 vcc_lo, v[2:3], v[4:5]
	s_cbranch_vccnz .LBB3_176
; %bb.65:                               ;   in Loop: Header=BB3_6 Depth=1
	ds_load_b32 v14, v7 offset:3096
	s_mov_b32 s6, exec_lo
	s_wait_dscnt 0x0
	v_cmpx_le_i32_e64 v0, v14
	s_cbranch_execz .LBB3_68
; %bb.66:                               ;   in Loop: Header=BB3_6 Depth=1
	s_add_co_i32 s7, s56, -1
	v_mad_u32 v2, v14, s17, v0
	v_mad_u32 v4, s7, s18, v0
	v_mov_b32_e32 v15, v0
	s_mov_b32 s7, 0
	s_delay_alu instid0(VALU_DEP_2) | instskip(NEXT) | instid1(VALU_DEP_1)
	v_dual_ashrrev_i32 v3, 31, v2 :: v_dual_ashrrev_i32 v5, 31, v4
	v_lshl_add_u64 v[2:3], v[2:3], 3, s[38:39]
	s_delay_alu instid0(VALU_DEP_2)
	v_lshl_add_u64 v[4:5], v[4:5], 3, s[36:37]
.LBB3_67:                               ;   Parent Loop BB3_6 Depth=1
                                        ; =>  This Inner Loop Header: Depth=2
	global_load_b64 v[16:17], v[2:3], off
	v_add_nc_u32_e32 v15, 0x100, v15
	s_wait_xcnt 0x0
	v_add_nc_u64_e32 v[2:3], 0x800, v[2:3]
	s_delay_alu instid0(VALU_DEP_2)
	v_cmp_gt_i32_e32 vcc_lo, v15, v14
	s_or_b32 s7, vcc_lo, s7
	s_wait_loadcnt 0x0
	global_store_b64 v[4:5], v[16:17], off
	s_wait_xcnt 0x0
	v_add_nc_u64_e32 v[4:5], 0x800, v[4:5]
	s_and_not1_b32 exec_lo, exec_lo, s7
	s_cbranch_execnz .LBB3_67
.LBB3_68:                               ;   in Loop: Header=BB3_6 Depth=1
	s_or_b32 exec_lo, exec_lo, s6
	v_sub_nc_u32_e32 v2, s34, v14
	s_mov_b32 s6, exec_lo
	s_delay_alu instid0(VALU_DEP_1)
	v_cmpx_lt_i32_e64 v0, v2
	s_cbranch_execz .LBB3_71
; %bb.69:                               ;   in Loop: Header=BB3_6 Depth=1
	s_add_co_i32 s7, s56, -1
	v_mov_b32_e32 v5, v0
	s_mul_i32 s7, s7, s18
	s_delay_alu instid0(SALU_CYCLE_1) | instskip(SKIP_1) | instid1(VALU_DEP_1)
	v_dual_add_nc_u32 v3, v1, v14 :: v_dual_add_nc_u32 v4, s7, v14
	s_mov_b32 s7, 0
	v_mad_u32 v3, s17, v3, v14
	s_delay_alu instid0(VALU_DEP_2)
	v_add_nc_u32_e32 v4, 1, v4
.LBB3_70:                               ;   Parent Loop BB3_6 Depth=1
                                        ; =>  This Inner Loop Header: Depth=2
	global_load_b64 v[14:15], v3, s[20:21] scale_offset
	s_wait_xcnt 0x0
	v_dual_add_nc_u32 v16, v4, v5 :: v_dual_add_nc_u32 v3, s53, v3
	v_add_nc_u32_e32 v5, 0x100, v5
	s_delay_alu instid0(VALU_DEP_1)
	v_cmp_ge_i32_e32 vcc_lo, v5, v2
	s_or_b32 s7, vcc_lo, s7
	s_wait_loadcnt 0x0
	global_store_b64 v16, v[14:15], s[36:37] scale_offset
	s_wait_xcnt 0x0
	s_and_not1_b32 exec_lo, exec_lo, s7
	s_cbranch_execnz .LBB3_70
.LBB3_71:                               ;   in Loop: Header=BB3_6 Depth=1
	s_or_b32 exec_lo, exec_lo, s6
	s_delay_alu instid0(SALU_CYCLE_1)
	s_and_not1_b32 vcc_lo, exec_lo, s57
	s_mov_b32 s6, -1
	s_wait_storecnt 0x0
	s_barrier_signal -1
	s_barrier_wait -1
                                        ; implicit-def: $sgpr46
	s_cbranch_vccnz .LBB3_73
; %bb.72:                               ;   in Loop: Header=BB3_6 Depth=1
	s_add_co_i32 s6, s56, -1
	s_delay_alu instid0(SALU_CYCLE_1)
	s_mul_i32 s46, s6, s18
	s_mov_b32 s6, 0
	s_ashr_i32 s47, s46, 31
.LBB3_73:                               ;   in Loop: Header=BB3_6 Depth=1
	s_and_not1_b32 vcc_lo, exec_lo, s6
	s_cbranch_vccnz .LBB3_82
; %bb.74:                               ;   in Loop: Header=BB3_6 Depth=1
	s_add_co_i32 s6, s56, 1
	s_delay_alu instid0(SALU_CYCLE_1) | instskip(NEXT) | instid1(SALU_CYCLE_1)
	s_mul_i32 s6, s6, s18
	s_sub_co_i32 s46, s6, s52
	s_delay_alu instid0(SALU_CYCLE_1)
	s_ashr_i32 s47, s46, 31
	s_and_saveexec_b32 s45, s5
	s_cbranch_execz .LBB3_81
; %bb.75:                               ;   in Loop: Header=BB3_6 Depth=1
	ds_load_b32 v2, v7 offset:3096
	s_add_co_i32 s49, s34, 1
	s_ashr_i32 s7, s6, 31
	s_mul_i32 s60, s49, s17
	s_lshl_b64 s[6:7], s[6:7], 3
	s_not_b32 s48, s34
	s_ashr_i32 s61, s60, 31
	s_add_co_i32 s48, s18, s48
	s_lshl_b64 s[58:59], s[46:47], 3
	v_lshl_add_u64 v[4:5], s[60:61], 3, v[10:11]
	s_cmp_gt_i32 s48, 0
	s_mov_b32 s49, 0
	s_cselect_b32 s57, -1, 0
	s_wait_dscnt 0x0
	v_dual_mov_b32 v20, v0 :: v_dual_ashrrev_i32 v3, 31, v2
	s_delay_alu instid0(VALU_DEP_1) | instskip(NEXT) | instid1(VALU_DEP_1)
	v_lshlrev_b64_e32 v[2:3], 3, v[2:3]
	v_add_nc_u64_e32 v[2:3], s[36:37], v[2:3]
	s_delay_alu instid0(VALU_DEP_1)
	v_add_nc_u64_e32 v[2:3], s[6:7], v[2:3]
	s_add_nc_u64 s[6:7], s[36:37], s[58:59]
	s_branch .LBB3_77
.LBB3_76:                               ;   in Loop: Header=BB3_77 Depth=2
	global_load_b64 v[16:17], v20, s[6:7] scale_offset
	v_add_nc_u64_e32 v[4:5], 0x800, v[4:5]
	s_wait_loadcnt 0x0
	v_add_f64_e64 v[14:15], v[16:17], -v[14:15]
	global_store_b64 v20, v[14:15], s[6:7] scale_offset
	s_wait_xcnt 0x0
	v_add_nc_u32_e32 v20, 0x100, v20
	s_delay_alu instid0(VALU_DEP_1) | instskip(SKIP_1) | instid1(SALU_CYCLE_1)
	v_cmp_lt_i32_e32 vcc_lo, s34, v20
	s_or_b32 s49, vcc_lo, s49
	s_and_not1_b32 exec_lo, exec_lo, s49
	s_cbranch_execz .LBB3_81
.LBB3_77:                               ;   Parent Loop BB3_6 Depth=1
                                        ; =>  This Loop Header: Depth=2
                                        ;       Child Loop BB3_79 Depth 3
	v_mov_b64_e32 v[14:15], 0
	s_and_not1_b32 vcc_lo, exec_lo, s57
	s_cbranch_vccnz .LBB3_76
; %bb.78:                               ;   in Loop: Header=BB3_77 Depth=2
	v_mov_b64_e32 v[16:17], v[4:5]
	v_mov_b64_e32 v[18:19], v[2:3]
	s_mov_b32 s58, s48
.LBB3_79:                               ;   Parent Loop BB3_6 Depth=1
                                        ;     Parent Loop BB3_77 Depth=2
                                        ; =>    This Inner Loop Header: Depth=3
	global_load_b64 v[22:23], v[16:17], off
	global_load_b64 v[26:27], v[18:19], off
	s_wait_xcnt 0x0
	v_add_nc_u64_e32 v[18:19], s[40:41], v[18:19]
	v_add_nc_u64_e32 v[16:17], s[42:43], v[16:17]
	s_add_co_i32 s58, s58, -1
	s_delay_alu instid0(SALU_CYCLE_1)
	s_cmp_eq_u32 s58, 0
	s_wait_loadcnt 0x0
	v_fmac_f64_e32 v[14:15], v[22:23], v[26:27]
	s_cbranch_scc0 .LBB3_79
	s_branch .LBB3_76
.LBB3_80:                               ;   in Loop: Header=BB3_6 Depth=1
	s_mov_b32 s5, -1
                                        ; implicit-def: $sgpr47
                                        ; implicit-def: $sgpr6
                                        ; implicit-def: $sgpr7
	s_branch .LBB3_208
.LBB3_81:                               ;   in Loop: Header=BB3_6 Depth=1
	s_or_b32 exec_lo, exec_lo, s45
	s_wait_storecnt 0x0
	s_barrier_signal -1
	s_barrier_wait -1
.LBB3_82:                               ;   in Loop: Header=BB3_6 Depth=1
	ds_load_b32 v4, v7 offset:3096
	v_mov_b64_e32 v[2:3], 0
	v_bfrev_b32_e32 v14, -2
	s_mov_b32 s7, exec_lo
	s_wait_dscnt 0x0
	v_sub_nc_u32_e32 v15, s34, v4
	s_delay_alu instid0(VALU_DEP_1)
	v_cmpx_lt_i32_e64 v0, v15
	s_cbranch_execz .LBB3_86
; %bb.83:                               ;   in Loop: Header=BB3_6 Depth=1
	v_dual_mov_b32 v16, v0 :: v_dual_ashrrev_i32 v5, 31, v4
	s_lshl_b64 s[48:49], s[46:47], 3
	v_bfrev_b32_e32 v14, -2
	s_mov_b32 s45, 0
	s_delay_alu instid0(VALU_DEP_2) | instskip(NEXT) | instid1(VALU_DEP_1)
	v_lshlrev_b64_e32 v[2:3], 3, v[4:5]
	v_add_nc_u64_e32 v[2:3], s[48:49], v[2:3]
	s_delay_alu instid0(VALU_DEP_1)
	v_add_nc_u64_e32 v[4:5], v[12:13], v[2:3]
	v_mov_b64_e32 v[2:3], 0
.LBB3_84:                               ;   Parent Loop BB3_6 Depth=1
                                        ; =>  This Inner Loop Header: Depth=2
	global_load_b64 v[18:19], v[4:5], off
	v_cmp_eq_u32_e32 vcc_lo, 0x7fffffff, v14
	s_wait_xcnt 0x0
	v_add_nc_u64_e32 v[4:5], 0x800, v[4:5]
	s_wait_loadcnt 0x0
	v_cmp_lt_f64_e64 s48, v[2:3], |v[18:19]|
	v_and_b32_e32 v19, 0x7fffffff, v19
	s_or_b32 vcc_lo, s48, vcc_lo
	s_delay_alu instid0(VALU_DEP_1) | instid1(SALU_CYCLE_1)
	v_dual_add_nc_u32 v17, 1, v16 :: v_dual_cndmask_b32 v3, v3, v19, vcc_lo
	v_add_nc_u32_e32 v16, 0x100, v16
	v_cndmask_b32_e32 v2, v2, v18, vcc_lo
	s_delay_alu instid0(VALU_DEP_3) | instskip(NEXT) | instid1(VALU_DEP_3)
	v_cndmask_b32_e32 v14, v14, v17, vcc_lo
	v_cmp_ge_i32_e64 s6, v16, v15
	s_or_b32 s45, s6, s45
	s_delay_alu instid0(SALU_CYCLE_1)
	s_and_not1_b32 exec_lo, exec_lo, s45
	s_cbranch_execnz .LBB3_84
; %bb.85:                               ;   in Loop: Header=BB3_6 Depth=1
	s_or_b32 exec_lo, exec_lo, s45
.LBB3_86:                               ;   in Loop: Header=BB3_6 Depth=1
	s_delay_alu instid0(SALU_CYCLE_1)
	s_or_b32 exec_lo, exec_lo, s7
	v_cmp_gt_i32_e32 vcc_lo, 2, v15
	ds_store_b64 v6, v[2:3]
	ds_store_b32 v24, v14
	s_wait_dscnt 0x0
	s_barrier_signal -1
	s_barrier_wait -1
	s_cbranch_vccnz .LBB3_123
; %bb.87:                               ;   in Loop: Header=BB3_6 Depth=1
	s_and_saveexec_b32 s7, s0
	s_cbranch_execz .LBB3_93
; %bb.88:                               ;   in Loop: Header=BB3_6 Depth=1
	ds_load_b64 v[4:5], v6 offset:1024
	ds_load_b32 v15, v24 offset:512
	s_mov_b32 s48, exec_lo
	s_wait_dscnt 0x1
	v_cmp_lt_f64_e64 s45, v[2:3], v[4:5]
	v_cmpx_nlt_f64_e32 v[2:3], v[4:5]
	s_cbranch_execz .LBB3_90
; %bb.89:                               ;   in Loop: Header=BB3_6 Depth=1
	v_cmp_eq_f64_e32 vcc_lo, v[2:3], v[4:5]
	s_wait_dscnt 0x0
	v_cmp_gt_i32_e64 s6, v14, v15
	s_and_not1_b32 s45, s45, exec_lo
	s_and_b32 s6, vcc_lo, s6
	s_delay_alu instid0(SALU_CYCLE_1) | instskip(NEXT) | instid1(SALU_CYCLE_1)
	s_and_b32 s6, s6, exec_lo
	s_or_b32 s45, s45, s6
.LBB3_90:                               ;   in Loop: Header=BB3_6 Depth=1
	s_or_b32 exec_lo, exec_lo, s48
	s_and_saveexec_b32 s6, s45
	s_cbranch_execz .LBB3_92
; %bb.91:                               ;   in Loop: Header=BB3_6 Depth=1
	v_mov_b64_e32 v[2:3], v[4:5]
	s_wait_dscnt 0x0
	v_mov_b32_e32 v14, v15
	ds_store_b64 v6, v[4:5]
	ds_store_b32 v24, v15
.LBB3_92:                               ;   in Loop: Header=BB3_6 Depth=1
	s_or_b32 exec_lo, exec_lo, s6
.LBB3_93:                               ;   in Loop: Header=BB3_6 Depth=1
	s_delay_alu instid0(SALU_CYCLE_1)
	s_or_b32 exec_lo, exec_lo, s7
	s_wait_dscnt 0x0
	s_barrier_signal -1
	s_barrier_wait -1
	s_and_saveexec_b32 s7, s1
	s_cbranch_execz .LBB3_99
; %bb.94:                               ;   in Loop: Header=BB3_6 Depth=1
	ds_load_b64 v[4:5], v6 offset:512
	ds_load_b32 v15, v24 offset:256
	s_mov_b32 s48, exec_lo
	s_wait_dscnt 0x1
	v_cmp_lt_f64_e64 s45, v[2:3], v[4:5]
	v_cmpx_nlt_f64_e32 v[2:3], v[4:5]
	s_cbranch_execz .LBB3_96
; %bb.95:                               ;   in Loop: Header=BB3_6 Depth=1
	v_cmp_eq_f64_e32 vcc_lo, v[2:3], v[4:5]
	s_wait_dscnt 0x0
	v_cmp_gt_i32_e64 s6, v14, v15
	s_and_not1_b32 s45, s45, exec_lo
	s_and_b32 s6, vcc_lo, s6
	s_delay_alu instid0(SALU_CYCLE_1) | instskip(NEXT) | instid1(SALU_CYCLE_1)
	s_and_b32 s6, s6, exec_lo
	s_or_b32 s45, s45, s6
.LBB3_96:                               ;   in Loop: Header=BB3_6 Depth=1
	s_or_b32 exec_lo, exec_lo, s48
	s_and_saveexec_b32 s6, s45
	s_cbranch_execz .LBB3_98
; %bb.97:                               ;   in Loop: Header=BB3_6 Depth=1
	v_mov_b64_e32 v[2:3], v[4:5]
	s_wait_dscnt 0x0
	v_mov_b32_e32 v14, v15
	ds_store_b64 v6, v[4:5]
	ds_store_b32 v24, v15
.LBB3_98:                               ;   in Loop: Header=BB3_6 Depth=1
	s_or_b32 exec_lo, exec_lo, s6
.LBB3_99:                               ;   in Loop: Header=BB3_6 Depth=1
	s_delay_alu instid0(SALU_CYCLE_1)
	s_or_b32 exec_lo, exec_lo, s7
	s_wait_dscnt 0x0
	s_barrier_signal -1
	s_barrier_wait -1
	s_and_saveexec_b32 s45, s3
	s_cbranch_execz .LBB3_122
; %bb.100:                              ;   in Loop: Header=BB3_6 Depth=1
	ds_load_b64 v[4:5], v6 offset:256
	ds_load_b32 v15, v24 offset:128
	s_mov_b32 s48, exec_lo
	s_wait_dscnt 0x1
	v_cmp_lt_f64_e64 s7, v[2:3], v[4:5]
	v_cmpx_nlt_f64_e32 v[2:3], v[4:5]
	s_cbranch_execz .LBB3_102
; %bb.101:                              ;   in Loop: Header=BB3_6 Depth=1
	v_cmp_eq_f64_e32 vcc_lo, v[2:3], v[4:5]
	s_wait_dscnt 0x0
	v_cmp_gt_i32_e64 s6, v14, v15
	s_and_not1_b32 s7, s7, exec_lo
	s_and_b32 s6, vcc_lo, s6
	s_delay_alu instid0(SALU_CYCLE_1) | instskip(NEXT) | instid1(SALU_CYCLE_1)
	s_and_b32 s6, s6, exec_lo
	s_or_b32 s7, s7, s6
.LBB3_102:                              ;   in Loop: Header=BB3_6 Depth=1
	s_or_b32 exec_lo, exec_lo, s48
	s_and_saveexec_b32 s6, s7
	s_cbranch_execz .LBB3_104
; %bb.103:                              ;   in Loop: Header=BB3_6 Depth=1
	v_mov_b64_e32 v[2:3], v[4:5]
	s_wait_dscnt 0x0
	v_mov_b32_e32 v14, v15
	ds_store_b64 v6, v[4:5]
	ds_store_b32 v24, v15
.LBB3_104:                              ;   in Loop: Header=BB3_6 Depth=1
	s_or_b32 exec_lo, exec_lo, s6
	ds_load_b64 v[4:5], v6 offset:128
	s_wait_dscnt 0x1
	ds_load_b32 v15, v24 offset:64
	s_mov_b32 s48, exec_lo
	s_wait_dscnt 0x1
	v_cmp_lt_f64_e64 s7, v[2:3], v[4:5]
	v_cmpx_nlt_f64_e32 v[2:3], v[4:5]
	s_cbranch_execz .LBB3_106
; %bb.105:                              ;   in Loop: Header=BB3_6 Depth=1
	v_cmp_eq_f64_e32 vcc_lo, v[2:3], v[4:5]
	s_wait_dscnt 0x0
	v_cmp_gt_i32_e64 s6, v14, v15
	s_and_not1_b32 s7, s7, exec_lo
	s_and_b32 s6, vcc_lo, s6
	s_delay_alu instid0(SALU_CYCLE_1) | instskip(NEXT) | instid1(SALU_CYCLE_1)
	s_and_b32 s6, s6, exec_lo
	s_or_b32 s7, s7, s6
.LBB3_106:                              ;   in Loop: Header=BB3_6 Depth=1
	s_or_b32 exec_lo, exec_lo, s48
	s_and_saveexec_b32 s6, s7
	s_cbranch_execz .LBB3_108
; %bb.107:                              ;   in Loop: Header=BB3_6 Depth=1
	v_mov_b64_e32 v[2:3], v[4:5]
	s_wait_dscnt 0x0
	v_mov_b32_e32 v14, v15
	ds_store_b64 v6, v[4:5]
	ds_store_b32 v24, v15
.LBB3_108:                              ;   in Loop: Header=BB3_6 Depth=1
	s_or_b32 exec_lo, exec_lo, s6
	ds_load_b64 v[4:5], v6 offset:64
	s_wait_dscnt 0x1
	;; [unrolled: 29-line block ×5, first 2 shown]
	ds_load_b32 v15, v24 offset:4
	s_wait_dscnt 0x1
	v_cmp_eq_f64_e32 vcc_lo, v[2:3], v[4:5]
	v_cmp_lt_f64_e64 s6, v[2:3], v[4:5]
	s_wait_dscnt 0x0
	v_cmp_gt_i32_e64 s7, v14, v15
	s_and_b32 s7, vcc_lo, s7
	s_delay_alu instid0(SALU_CYCLE_1) | instskip(NEXT) | instid1(SALU_CYCLE_1)
	s_or_b32 s6, s6, s7
	s_and_b32 exec_lo, exec_lo, s6
	s_cbranch_execz .LBB3_122
; %bb.121:                              ;   in Loop: Header=BB3_6 Depth=1
	ds_store_b64 v6, v[4:5]
	ds_store_b32 v24, v15
.LBB3_122:                              ;   in Loop: Header=BB3_6 Depth=1
	s_or_b32 exec_lo, exec_lo, s45
.LBB3_123:                              ;   in Loop: Header=BB3_6 Depth=1
	s_and_saveexec_b32 s6, s2
	s_cbranch_execz .LBB3_125
; %bb.124:                              ;   in Loop: Header=BB3_6 Depth=1
	ds_load_b64 v[2:3], v7
	s_wait_dscnt 0x0
	ds_store_b64 v7, v[2:3] offset:3088
.LBB3_125:                              ;   in Loop: Header=BB3_6 Depth=1
	s_or_b32 exec_lo, exec_lo, s6
	ds_load_b32 v15, v7 offset:3096
	s_wait_dscnt 0x0
	v_cmp_gt_i32_e32 vcc_lo, 1, v15
	s_cbranch_vccnz .LBB3_170
; %bb.126:                              ;   in Loop: Header=BB3_6 Depth=1
	v_mov_b64_e32 v[2:3], 0
	v_bfrev_b32_e32 v14, -2
	s_mov_b32 s7, exec_lo
	v_cmpx_lt_i32_e64 v0, v15
	s_cbranch_execz .LBB3_130
; %bb.127:                              ;   in Loop: Header=BB3_6 Depth=1
	v_mov_b64_e32 v[2:3], 0
	v_lshl_add_u64 v[4:5], s[46:47], 3, v[8:9]
	v_bfrev_b32_e32 v14, -2
	v_mov_b32_e32 v16, v0
	s_mov_b32 s45, 0
.LBB3_128:                              ;   Parent Loop BB3_6 Depth=1
                                        ; =>  This Inner Loop Header: Depth=2
	global_load_b64 v[18:19], v[4:5], off
	v_cmp_eq_u32_e32 vcc_lo, 0x7fffffff, v14
	s_wait_xcnt 0x0
	v_add_nc_u64_e32 v[4:5], 0x800, v[4:5]
	s_wait_loadcnt 0x0
	v_cmp_lt_f64_e64 s47, v[2:3], |v[18:19]|
	v_and_b32_e32 v19, 0x7fffffff, v19
	s_or_b32 vcc_lo, s47, vcc_lo
	s_delay_alu instid0(VALU_DEP_1) | instid1(SALU_CYCLE_1)
	v_dual_add_nc_u32 v17, 1, v16 :: v_dual_cndmask_b32 v3, v3, v19, vcc_lo
	v_add_nc_u32_e32 v16, 0x100, v16
	v_cndmask_b32_e32 v2, v2, v18, vcc_lo
	s_delay_alu instid0(VALU_DEP_3) | instskip(NEXT) | instid1(VALU_DEP_3)
	v_cndmask_b32_e32 v14, v14, v17, vcc_lo
	v_cmp_ge_i32_e64 s6, v16, v15
	s_or_b32 s45, s6, s45
	s_delay_alu instid0(SALU_CYCLE_1)
	s_and_not1_b32 exec_lo, exec_lo, s45
	s_cbranch_execnz .LBB3_128
; %bb.129:                              ;   in Loop: Header=BB3_6 Depth=1
	s_or_b32 exec_lo, exec_lo, s45
.LBB3_130:                              ;   in Loop: Header=BB3_6 Depth=1
	s_delay_alu instid0(SALU_CYCLE_1)
	s_or_b32 exec_lo, exec_lo, s7
	v_cmp_eq_u32_e32 vcc_lo, 1, v15
	ds_store_b64 v6, v[2:3]
	ds_store_b32 v24, v14
	s_wait_dscnt 0x0
	s_barrier_signal -1
	s_barrier_wait -1
	s_cbranch_vccnz .LBB3_167
; %bb.131:                              ;   in Loop: Header=BB3_6 Depth=1
	s_and_saveexec_b32 s7, s0
	s_cbranch_execz .LBB3_137
; %bb.132:                              ;   in Loop: Header=BB3_6 Depth=1
	ds_load_b64 v[4:5], v6 offset:1024
	ds_load_b32 v15, v24 offset:512
	s_mov_b32 s47, exec_lo
	s_wait_dscnt 0x1
	v_cmp_lt_f64_e64 s45, v[2:3], v[4:5]
	v_cmpx_nlt_f64_e32 v[2:3], v[4:5]
	s_cbranch_execz .LBB3_134
; %bb.133:                              ;   in Loop: Header=BB3_6 Depth=1
	v_cmp_eq_f64_e32 vcc_lo, v[2:3], v[4:5]
	s_wait_dscnt 0x0
	v_cmp_gt_i32_e64 s6, v14, v15
	s_and_not1_b32 s45, s45, exec_lo
	s_and_b32 s6, vcc_lo, s6
	s_delay_alu instid0(SALU_CYCLE_1) | instskip(NEXT) | instid1(SALU_CYCLE_1)
	s_and_b32 s6, s6, exec_lo
	s_or_b32 s45, s45, s6
.LBB3_134:                              ;   in Loop: Header=BB3_6 Depth=1
	s_or_b32 exec_lo, exec_lo, s47
	s_and_saveexec_b32 s6, s45
	s_cbranch_execz .LBB3_136
; %bb.135:                              ;   in Loop: Header=BB3_6 Depth=1
	v_mov_b64_e32 v[2:3], v[4:5]
	s_wait_dscnt 0x0
	v_mov_b32_e32 v14, v15
	ds_store_b64 v6, v[4:5]
	ds_store_b32 v24, v15
.LBB3_136:                              ;   in Loop: Header=BB3_6 Depth=1
	s_or_b32 exec_lo, exec_lo, s6
.LBB3_137:                              ;   in Loop: Header=BB3_6 Depth=1
	s_delay_alu instid0(SALU_CYCLE_1)
	s_or_b32 exec_lo, exec_lo, s7
	s_wait_dscnt 0x0
	s_barrier_signal -1
	s_barrier_wait -1
	s_and_saveexec_b32 s7, s1
	s_cbranch_execz .LBB3_143
; %bb.138:                              ;   in Loop: Header=BB3_6 Depth=1
	ds_load_b64 v[4:5], v6 offset:512
	ds_load_b32 v15, v24 offset:256
	s_mov_b32 s47, exec_lo
	s_wait_dscnt 0x1
	v_cmp_lt_f64_e64 s45, v[2:3], v[4:5]
	v_cmpx_nlt_f64_e32 v[2:3], v[4:5]
	s_cbranch_execz .LBB3_140
; %bb.139:                              ;   in Loop: Header=BB3_6 Depth=1
	v_cmp_eq_f64_e32 vcc_lo, v[2:3], v[4:5]
	s_wait_dscnt 0x0
	v_cmp_gt_i32_e64 s6, v14, v15
	s_and_not1_b32 s45, s45, exec_lo
	s_and_b32 s6, vcc_lo, s6
	s_delay_alu instid0(SALU_CYCLE_1) | instskip(NEXT) | instid1(SALU_CYCLE_1)
	s_and_b32 s6, s6, exec_lo
	s_or_b32 s45, s45, s6
.LBB3_140:                              ;   in Loop: Header=BB3_6 Depth=1
	s_or_b32 exec_lo, exec_lo, s47
	s_and_saveexec_b32 s6, s45
	s_cbranch_execz .LBB3_142
; %bb.141:                              ;   in Loop: Header=BB3_6 Depth=1
	v_mov_b64_e32 v[2:3], v[4:5]
	s_wait_dscnt 0x0
	v_mov_b32_e32 v14, v15
	ds_store_b64 v6, v[4:5]
	ds_store_b32 v24, v15
.LBB3_142:                              ;   in Loop: Header=BB3_6 Depth=1
	s_or_b32 exec_lo, exec_lo, s6
.LBB3_143:                              ;   in Loop: Header=BB3_6 Depth=1
	s_delay_alu instid0(SALU_CYCLE_1)
	s_or_b32 exec_lo, exec_lo, s7
	s_wait_dscnt 0x0
	s_barrier_signal -1
	s_barrier_wait -1
	s_and_saveexec_b32 s45, s3
	s_cbranch_execz .LBB3_166
; %bb.144:                              ;   in Loop: Header=BB3_6 Depth=1
	ds_load_b64 v[4:5], v6 offset:256
	ds_load_b32 v15, v24 offset:128
	s_mov_b32 s47, exec_lo
	s_wait_dscnt 0x1
	v_cmp_lt_f64_e64 s7, v[2:3], v[4:5]
	v_cmpx_nlt_f64_e32 v[2:3], v[4:5]
	s_cbranch_execz .LBB3_146
; %bb.145:                              ;   in Loop: Header=BB3_6 Depth=1
	v_cmp_eq_f64_e32 vcc_lo, v[2:3], v[4:5]
	s_wait_dscnt 0x0
	v_cmp_gt_i32_e64 s6, v14, v15
	s_and_not1_b32 s7, s7, exec_lo
	s_and_b32 s6, vcc_lo, s6
	s_delay_alu instid0(SALU_CYCLE_1) | instskip(NEXT) | instid1(SALU_CYCLE_1)
	s_and_b32 s6, s6, exec_lo
	s_or_b32 s7, s7, s6
.LBB3_146:                              ;   in Loop: Header=BB3_6 Depth=1
	s_or_b32 exec_lo, exec_lo, s47
	s_and_saveexec_b32 s6, s7
	s_cbranch_execz .LBB3_148
; %bb.147:                              ;   in Loop: Header=BB3_6 Depth=1
	v_mov_b64_e32 v[2:3], v[4:5]
	s_wait_dscnt 0x0
	v_mov_b32_e32 v14, v15
	ds_store_b64 v6, v[4:5]
	ds_store_b32 v24, v15
.LBB3_148:                              ;   in Loop: Header=BB3_6 Depth=1
	s_or_b32 exec_lo, exec_lo, s6
	ds_load_b64 v[4:5], v6 offset:128
	s_wait_dscnt 0x1
	ds_load_b32 v15, v24 offset:64
	s_mov_b32 s47, exec_lo
	s_wait_dscnt 0x1
	v_cmp_lt_f64_e64 s7, v[2:3], v[4:5]
	v_cmpx_nlt_f64_e32 v[2:3], v[4:5]
	s_cbranch_execz .LBB3_150
; %bb.149:                              ;   in Loop: Header=BB3_6 Depth=1
	v_cmp_eq_f64_e32 vcc_lo, v[2:3], v[4:5]
	s_wait_dscnt 0x0
	v_cmp_gt_i32_e64 s6, v14, v15
	s_and_not1_b32 s7, s7, exec_lo
	s_and_b32 s6, vcc_lo, s6
	s_delay_alu instid0(SALU_CYCLE_1) | instskip(NEXT) | instid1(SALU_CYCLE_1)
	s_and_b32 s6, s6, exec_lo
	s_or_b32 s7, s7, s6
.LBB3_150:                              ;   in Loop: Header=BB3_6 Depth=1
	s_or_b32 exec_lo, exec_lo, s47
	s_and_saveexec_b32 s6, s7
	s_cbranch_execz .LBB3_152
; %bb.151:                              ;   in Loop: Header=BB3_6 Depth=1
	v_mov_b64_e32 v[2:3], v[4:5]
	s_wait_dscnt 0x0
	v_mov_b32_e32 v14, v15
	ds_store_b64 v6, v[4:5]
	ds_store_b32 v24, v15
.LBB3_152:                              ;   in Loop: Header=BB3_6 Depth=1
	s_or_b32 exec_lo, exec_lo, s6
	ds_load_b64 v[4:5], v6 offset:64
	s_wait_dscnt 0x1
	;; [unrolled: 29-line block ×5, first 2 shown]
	ds_load_b32 v15, v24 offset:4
	s_wait_dscnt 0x1
	v_cmp_eq_f64_e32 vcc_lo, v[2:3], v[4:5]
	v_cmp_lt_f64_e64 s6, v[2:3], v[4:5]
	s_wait_dscnt 0x0
	v_cmp_gt_i32_e64 s7, v14, v15
	s_and_b32 s7, vcc_lo, s7
	s_delay_alu instid0(SALU_CYCLE_1) | instskip(NEXT) | instid1(SALU_CYCLE_1)
	s_or_b32 s6, s6, s7
	s_and_b32 exec_lo, exec_lo, s6
	s_cbranch_execz .LBB3_166
; %bb.165:                              ;   in Loop: Header=BB3_6 Depth=1
	ds_store_b64 v6, v[4:5]
	ds_store_b32 v24, v15
.LBB3_166:                              ;   in Loop: Header=BB3_6 Depth=1
	s_or_b32 exec_lo, exec_lo, s45
.LBB3_167:                              ;   in Loop: Header=BB3_6 Depth=1
	s_and_saveexec_b32 s6, s2
	s_cbranch_execz .LBB3_169
; %bb.168:                              ;   in Loop: Header=BB3_6 Depth=1
	ds_load_b64 v[2:3], v7 offset:3088
	ds_load_b64 v[4:5], v7
	s_wait_dscnt 0x0
	v_cmp_lt_f64_e32 vcc_lo, v[2:3], v[4:5]
	v_dual_cndmask_b32 v3, v3, v5 :: v_dual_cndmask_b32 v2, v2, v4
	ds_store_b64 v7, v[2:3] offset:3088
.LBB3_169:                              ;   in Loop: Header=BB3_6 Depth=1
	s_or_b32 exec_lo, exec_lo, s6
.LBB3_170:                              ;   in Loop: Header=BB3_6 Depth=1
	s_wait_dscnt 0x0
	s_barrier_signal -1
	s_barrier_wait -1
	ds_load_b128 v[14:17], v7 offset:3072
	ds_load_b64 v[2:3], v7 offset:3088
	s_wait_dscnt 0x0
	v_div_scale_f64 v[4:5], null, v[2:3], v[2:3], v[16:17]
	s_delay_alu instid0(VALU_DEP_1) | instskip(SKIP_1) | instid1(TRANS32_DEP_1)
	v_rcp_f64_e32 v[18:19], v[4:5]
	v_nop
	v_fma_f64 v[20:21], -v[4:5], v[18:19], 1.0
	s_delay_alu instid0(VALU_DEP_1) | instskip(NEXT) | instid1(VALU_DEP_1)
	v_fmac_f64_e32 v[18:19], v[18:19], v[20:21]
	v_fma_f64 v[20:21], -v[4:5], v[18:19], 1.0
	s_delay_alu instid0(VALU_DEP_1) | instskip(SKIP_1) | instid1(VALU_DEP_1)
	v_fmac_f64_e32 v[18:19], v[18:19], v[20:21]
	v_div_scale_f64 v[20:21], vcc_lo, v[16:17], v[2:3], v[16:17]
	v_mul_f64_e32 v[22:23], v[20:21], v[18:19]
	s_delay_alu instid0(VALU_DEP_1) | instskip(NEXT) | instid1(VALU_DEP_1)
	v_fma_f64 v[4:5], -v[4:5], v[22:23], v[20:21]
	v_div_fmas_f64 v[4:5], v[4:5], v[18:19], v[22:23]
	v_mul_f64_e32 v[18:19], 0x3fe47e0f66afed07, v[16:17]
	s_delay_alu instid0(VALU_DEP_2) | instskip(NEXT) | instid1(VALU_DEP_1)
	v_div_fixup_f64 v[4:5], v[4:5], v[2:3], v[16:17]
	v_mul_f64_e32 v[4:5], v[18:19], v[4:5]
	s_delay_alu instid0(VALU_DEP_1)
	v_cmp_ge_f64_e32 vcc_lo, v[14:15], v[4:5]
	s_cbranch_vccnz .LBB3_176
; %bb.171:                              ;   in Loop: Header=BB3_6 Depth=1
	ds_load_b32 v14, v7 offset:3096
	v_mul_f64_e32 v[2:3], 0x3fe47e0f66afed07, v[2:3]
	s_wait_dscnt 0x0
	v_add_nc_u32_e32 v4, s46, v14
	v_readfirstlane_b32 s47, v14
	global_load_b64 v[4:5], v4, s[36:37] scale_offset
	s_wait_loadcnt 0x0
	v_cmp_nge_f64_e64 s6, |v[4:5]|, v[2:3]
	s_and_b32 vcc_lo, exec_lo, s6
	s_cbranch_vccnz .LBB3_217
; %bb.172:                              ;   in Loop: Header=BB3_6 Depth=1
	s_and_saveexec_b32 s6, s5
	s_cbranch_execz .LBB3_175
; %bb.173:                              ;   in Loop: Header=BB3_6 Depth=1
	v_dual_add_nc_u32 v2, s44, v0 :: v_dual_add_nc_u32 v4, s46, v0
	v_mov_b32_e32 v14, v0
	s_mov_b32 s5, 0
	s_delay_alu instid0(VALU_DEP_2) | instskip(NEXT) | instid1(VALU_DEP_1)
	v_dual_ashrrev_i32 v3, 31, v2 :: v_dual_ashrrev_i32 v5, 31, v4
	v_lshl_add_u64 v[2:3], v[2:3], 3, s[36:37]
	s_delay_alu instid0(VALU_DEP_2)
	v_lshl_add_u64 v[4:5], v[4:5], 3, s[36:37]
.LBB3_174:                              ;   Parent Loop BB3_6 Depth=1
                                        ; =>  This Inner Loop Header: Depth=2
	global_load_b64 v[16:17], v[4:5], off
	v_add_nc_u32_e32 v14, 0x100, v14
	s_wait_xcnt 0x0
	v_add_nc_u64_e32 v[4:5], 0x800, v[4:5]
	s_delay_alu instid0(VALU_DEP_2)
	v_cmp_lt_i32_e32 vcc_lo, s34, v14
	s_or_b32 s5, vcc_lo, s5
	s_wait_loadcnt 0x0
	global_store_b64 v[2:3], v[16:17], off
	s_wait_xcnt 0x0
	v_add_nc_u64_e32 v[2:3], 0x800, v[2:3]
	s_and_not1_b32 exec_lo, exec_lo, s5
	s_cbranch_execnz .LBB3_174
.LBB3_175:                              ;   in Loop: Header=BB3_6 Depth=1
	s_or_b32 exec_lo, exec_lo, s6
	s_mov_b32 s5, -1
	s_mov_b32 s45, -1
	s_wait_storecnt 0x0
	s_barrier_signal -1
	s_barrier_wait -1
	s_add_co_i32 s6, s45, s34
	s_delay_alu instid0(SALU_CYCLE_1) | instskip(NEXT) | instid1(SALU_CYCLE_1)
	s_add_co_i32 s46, s6, 1
	s_cmp_eq_u32 s47, s46
	s_cbranch_scc0 .LBB3_177
	s_branch .LBB3_192
.LBB3_176:                              ;   in Loop: Header=BB3_6 Depth=1
	s_mov_b32 s5, -1
	s_mov_b32 s45, -1
	s_mov_b32 s47, s34
	s_add_co_i32 s6, s45, s34
	s_delay_alu instid0(SALU_CYCLE_1) | instskip(NEXT) | instid1(SALU_CYCLE_1)
	s_add_co_i32 s46, s6, 1
	s_cmp_eq_u32 s47, s46
	s_cbranch_scc1 .LBB3_192
.LBB3_177:                              ;   in Loop: Header=BB3_6 Depth=1
	s_and_saveexec_b32 s7, s2
	s_cbranch_execz .LBB3_179
; %bb.178:                              ;   in Loop: Header=BB3_6 Depth=1
	s_mul_i32 s48, s46, s51
	s_delay_alu instid0(SALU_CYCLE_1) | instskip(SKIP_1) | instid1(SALU_CYCLE_1)
	v_mov_b32_e32 v2, s48
	s_mul_i32 s48, s47, s51
	v_mov_b32_e32 v4, s48
	global_load_b64 v[2:3], v2, s[20:21] scale_offset
	s_wait_loadcnt 0x0
	global_store_b64 v4, v[2:3], s[20:21] scale_offset
.LBB3_179:                              ;   in Loop: Header=BB3_6 Depth=1
	s_wait_xcnt 0x0
	s_or_b32 exec_lo, exec_lo, s7
	s_sub_co_i32 s7, s6, s47
	s_mov_b32 s48, exec_lo
	v_cmpx_gt_i32_e64 s7, v0
	s_cbranch_execz .LBB3_182
; %bb.180:                              ;   in Loop: Header=BB3_6 Depth=1
	v_dual_mov_b32 v3, v0 :: v_dual_add_nc_u32 v2, s47, v1
	s_mul_i32 s49, s46, s17
	s_mov_b32 s57, 0
	s_add_co_i32 s49, s47, s49
	s_delay_alu instid0(VALU_DEP_1)
	v_mad_u32 v2, s17, v2, s47
	s_add_co_i32 s49, s49, 1
.LBB3_181:                              ;   Parent Loop BB3_6 Depth=1
                                        ; =>  This Inner Loop Header: Depth=2
	s_delay_alu instid0(SALU_CYCLE_1)
	v_add_nc_u32_e32 v4, s49, v3
	v_add_nc_u32_e32 v3, 0x100, v3
	global_load_b64 v[4:5], v4, s[20:21] scale_offset
	v_cmp_le_i32_e32 vcc_lo, s7, v3
	s_or_b32 s57, vcc_lo, s57
	s_wait_loadcnt 0x0
	global_store_b64 v2, v[4:5], s[20:21] scale_offset
	s_wait_xcnt 0x0
	v_add_nc_u32_e32 v2, s53, v2
	s_and_not1_b32 exec_lo, exec_lo, s57
	s_cbranch_execnz .LBB3_181
.LBB3_182:                              ;   in Loop: Header=BB3_6 Depth=1
	s_or_b32 exec_lo, exec_lo, s48
	s_delay_alu instid0(SALU_CYCLE_1)
	s_mov_b32 s7, exec_lo
	v_cmpx_gt_i32_e64 s47, v0
	s_cbranch_execz .LBB3_185
; %bb.183:                              ;   in Loop: Header=BB3_6 Depth=1
	v_mad_u32 v2, s47, s17, v0
	v_mad_u32 v4, s46, s17, v0
	v_mov_b32_e32 v14, v0
	s_mov_b32 s48, 0
	s_delay_alu instid0(VALU_DEP_2) | instskip(NEXT) | instid1(VALU_DEP_1)
	v_dual_ashrrev_i32 v3, 31, v2 :: v_dual_ashrrev_i32 v5, 31, v4
	v_lshl_add_u64 v[2:3], v[2:3], 3, s[38:39]
	s_delay_alu instid0(VALU_DEP_2)
	v_lshl_add_u64 v[4:5], v[4:5], 3, s[38:39]
.LBB3_184:                              ;   Parent Loop BB3_6 Depth=1
                                        ; =>  This Inner Loop Header: Depth=2
	global_load_b64 v[16:17], v[4:5], off
	v_add_nc_u32_e32 v14, 0x100, v14
	s_wait_xcnt 0x0
	v_add_nc_u64_e32 v[4:5], 0x800, v[4:5]
	s_delay_alu instid0(VALU_DEP_2)
	v_cmp_le_i32_e32 vcc_lo, s47, v14
	s_or_b32 s48, vcc_lo, s48
	s_wait_loadcnt 0x0
	global_store_b64 v[2:3], v[16:17], off
	s_wait_xcnt 0x0
	v_add_nc_u64_e32 v[2:3], 0x800, v[2:3]
	s_and_not1_b32 exec_lo, exec_lo, s48
	s_cbranch_execnz .LBB3_184
.LBB3_185:                              ;   in Loop: Header=BB3_6 Depth=1
	s_or_b32 exec_lo, exec_lo, s7
	s_not_b32 s7, s34
	s_mov_b32 s49, exec_lo
	s_add_co_i32 s48, s18, s7
	s_wait_storecnt 0x0
	s_barrier_signal -1
	s_barrier_wait -1
	v_cmpx_gt_i32_e64 s48, v0
	s_cbranch_execz .LBB3_188
; %bb.186:                              ;   in Loop: Header=BB3_6 Depth=1
	v_dual_add_nc_u32 v2, s34, v1 :: v_dual_mov_b32 v4, v0
	s_ashr_i32 s7, s6, 31
	s_mov_b32 s57, 0
	s_delay_alu instid0(VALU_DEP_1)
	v_mul_lo_u32 v2, s17, v2
.LBB3_187:                              ;   Parent Loop BB3_6 Depth=1
                                        ; =>  This Inner Loop Header: Depth=2
	s_delay_alu instid0(VALU_DEP_1) | instskip(SKIP_1) | instid1(VALU_DEP_2)
	v_ashrrev_i32_e32 v3, 31, v2
	v_add_nc_u32_e32 v4, 0x100, v4
	v_add_nc_u64_e32 v[14:15], s[6:7], v[2:3]
	v_add_nc_u32_e32 v3, s47, v2
	s_delay_alu instid0(VALU_DEP_3) | instskip(SKIP_2) | instid1(VALU_DEP_4)
	v_cmp_le_i32_e32 vcc_lo, s48, v4
	v_add_nc_u32_e32 v2, s53, v2
	s_or_b32 s57, vcc_lo, s57
	v_lshl_add_u64 v[14:15], v[14:15], 3, s[20:21]
	s_clause 0x1
	global_load_b64 v[16:17], v3, s[20:21] scale_offset
	global_load_b64 v[18:19], v[14:15], off offset:8
	s_wait_loadcnt 0x1
	global_store_b64 v[14:15], v[16:17], off offset:8
	s_wait_loadcnt 0x0
	global_store_b64 v3, v[18:19], s[20:21] scale_offset
	s_wait_xcnt 0x0
	s_and_not1_b32 exec_lo, exec_lo, s57
	s_cbranch_execnz .LBB3_187
.LBB3_188:                              ;   in Loop: Header=BB3_6 Depth=1
	s_or_b32 exec_lo, exec_lo, s49
	s_sub_co_i32 s46, s18, s46
	s_mov_b32 s48, exec_lo
	v_cmpx_gt_i32_e64 s46, v0
	s_cbranch_execz .LBB3_191
; %bb.189:                              ;   in Loop: Header=BB3_6 Depth=1
	v_add3_u32 v2, s34, s45, v25
	v_mov_b32_e32 v4, v0
	s_ashr_i32 s7, s6, 31
	s_mov_b32 s45, 0
	s_delay_alu instid0(VALU_DEP_2)
	v_mul_lo_u32 v2, s18, v2
.LBB3_190:                              ;   Parent Loop BB3_6 Depth=1
                                        ; =>  This Inner Loop Header: Depth=2
	s_delay_alu instid0(VALU_DEP_1) | instskip(SKIP_1) | instid1(VALU_DEP_2)
	v_ashrrev_i32_e32 v3, 31, v2
	v_add_nc_u32_e32 v4, 0x100, v4
	v_add_nc_u64_e32 v[14:15], s[6:7], v[2:3]
	v_add_nc_u32_e32 v3, s47, v2
	s_delay_alu instid0(VALU_DEP_3) | instskip(SKIP_2) | instid1(VALU_DEP_4)
	v_cmp_le_i32_e32 vcc_lo, s46, v4
	v_add_nc_u32_e32 v2, s54, v2
	s_or_b32 s45, vcc_lo, s45
	v_lshl_add_u64 v[14:15], v[14:15], 3, s[36:37]
	s_clause 0x1
	global_load_b64 v[16:17], v3, s[36:37] scale_offset
	global_load_b64 v[18:19], v[14:15], off offset:8
	s_wait_loadcnt 0x1
	global_store_b64 v[14:15], v[16:17], off offset:8
	s_wait_loadcnt 0x0
	global_store_b64 v3, v[18:19], s[36:37] scale_offset
	s_wait_xcnt 0x0
	s_and_not1_b32 exec_lo, exec_lo, s45
	s_cbranch_execnz .LBB3_190
.LBB3_191:                              ;   in Loop: Header=BB3_6 Depth=1
	s_or_b32 exec_lo, exec_lo, s48
	s_wait_storecnt 0x0
	s_barrier_signal -1
	s_barrier_wait -1
.LBB3_192:                              ;   in Loop: Header=BB3_6 Depth=1
	s_xor_b32 s5, s5, -1
	s_mov_b32 s7, -1
	s_and_b32 vcc_lo, exec_lo, s5
	s_cbranch_vccz .LBB3_201
; %bb.193:                              ;   in Loop: Header=BB3_6 Depth=1
	s_cmp_lt_i32 s34, 2
	s_cbranch_scc1 .LBB3_198
; %bb.194:                              ;   in Loop: Header=BB3_6 Depth=1
	s_add_co_i32 s6, s34, -2
	s_mov_b32 s7, exec_lo
	v_cmpx_ge_i32_e64 s6, v0
	s_cbranch_execz .LBB3_197
; %bb.195:                              ;   in Loop: Header=BB3_6 Depth=1
	s_add_co_i32 s5, s56, -1
	s_ashr_i32 s45, s44, 31
	s_mul_i32 s60, s5, s18
	s_ashr_i32 s49, s34, 31
	s_mov_b32 s48, s34
	s_ashr_i32 s61, s60, 31
	s_add_nc_u64 s[58:59], s[44:45], s[48:49]
	s_add_co_i32 s5, s44, s34
	s_add_nc_u64 s[48:49], s[60:61], s[48:49]
	s_lshl_b64 s[58:59], s[58:59], 3
	v_mov_b32_e32 v2, s5
	s_lshl_b64 s[48:49], s[48:49], 3
	s_add_nc_u64 s[58:59], s[36:37], s[58:59]
	s_add_nc_u64 s[48:49], s[36:37], s[48:49]
	s_clause 0x2
	global_load_b64 v[14:15], v7, s[58:59] offset:-8
	global_load_b64 v[4:5], v7, s[48:49] offset:-8
	global_load_b64 v[2:3], v2, s[36:37] scale_offset
	s_wait_loadcnt 0x1
	v_div_scale_f64 v[18:19], null, v[14:15], v[14:15], v[4:5]
	s_wait_loadcnt 0x0
	v_div_scale_f64 v[16:17], null, v[14:15], v[14:15], v[2:3]
	v_div_scale_f64 v[30:31], vcc_lo, v[2:3], v[14:15], v[2:3]
	s_delay_alu instid0(VALU_DEP_3) | instskip(NEXT) | instid1(VALU_DEP_2)
	v_rcp_f64_e32 v[22:23], v[18:19]
	v_rcp_f64_e32 v[20:21], v[16:17]
	s_delay_alu instid0(TRANS32_DEP_2) | instskip(NEXT) | instid1(TRANS32_DEP_1)
	v_fma_f64 v[28:29], -v[18:19], v[22:23], 1.0
	v_fma_f64 v[26:27], -v[16:17], v[20:21], 1.0
	s_delay_alu instid0(VALU_DEP_2) | instskip(NEXT) | instid1(VALU_DEP_2)
	v_fmac_f64_e32 v[22:23], v[22:23], v[28:29]
	v_fmac_f64_e32 v[20:21], v[20:21], v[26:27]
	s_delay_alu instid0(VALU_DEP_2) | instskip(NEXT) | instid1(VALU_DEP_2)
	v_fma_f64 v[28:29], -v[18:19], v[22:23], 1.0
	v_fma_f64 v[26:27], -v[16:17], v[20:21], 1.0
	s_delay_alu instid0(VALU_DEP_2) | instskip(NEXT) | instid1(VALU_DEP_2)
	v_fmac_f64_e32 v[22:23], v[22:23], v[28:29]
	v_fmac_f64_e32 v[20:21], v[20:21], v[26:27]
	v_div_scale_f64 v[26:27], s5, v[4:5], v[14:15], v[4:5]
	s_delay_alu instid0(VALU_DEP_2) | instskip(NEXT) | instid1(VALU_DEP_2)
	v_mul_f64_e32 v[28:29], v[30:31], v[20:21]
	v_mul_f64_e32 v[32:33], v[26:27], v[22:23]
	s_delay_alu instid0(VALU_DEP_2) | instskip(NEXT) | instid1(VALU_DEP_2)
	v_fma_f64 v[16:17], -v[16:17], v[28:29], v[30:31]
	v_dual_fma_f64 v[18:19], -v[18:19], v[32:33], v[26:27] :: v_dual_mov_b32 v26, v0
	s_delay_alu instid0(VALU_DEP_2) | instskip(SKIP_2) | instid1(VALU_DEP_2)
	v_div_fmas_f64 v[16:17], v[16:17], v[20:21], v[28:29]
	s_mov_b32 vcc_lo, s5
	s_add_co_i32 s5, s34, -1
	v_div_fmas_f64 v[18:19], v[18:19], v[22:23], v[32:33]
	s_delay_alu instid0(VALU_DEP_2) | instskip(NEXT) | instid1(VALU_DEP_2)
	v_div_fixup_f64 v[2:3], v[16:17], v[14:15], v[2:3]
	v_div_fixup_f64 v[4:5], v[18:19], v[14:15], v[4:5]
	s_delay_alu instid0(VALU_DEP_1) | instskip(NEXT) | instid1(VALU_DEP_1)
	v_fma_f64 v[16:17], v[2:3], v[4:5], -1.0
	v_mul_f64_e32 v[14:15], v[14:15], v[16:17]
	s_delay_alu instid0(VALU_DEP_1) | instskip(NEXT) | instid1(VALU_DEP_1)
	v_div_scale_f64 v[16:17], null, v[14:15], v[14:15], 1.0
	v_rcp_f64_e32 v[18:19], v[16:17]
	v_nop
	s_delay_alu instid0(TRANS32_DEP_1) | instskip(NEXT) | instid1(VALU_DEP_1)
	v_fma_f64 v[20:21], -v[16:17], v[18:19], 1.0
	v_fmac_f64_e32 v[18:19], v[18:19], v[20:21]
	s_delay_alu instid0(VALU_DEP_1) | instskip(NEXT) | instid1(VALU_DEP_1)
	v_fma_f64 v[20:21], -v[16:17], v[18:19], 1.0
	v_fmac_f64_e32 v[18:19], v[18:19], v[20:21]
	v_div_scale_f64 v[20:21], vcc_lo, 1.0, v[14:15], 1.0
	s_delay_alu instid0(VALU_DEP_1) | instskip(NEXT) | instid1(VALU_DEP_1)
	v_mul_f64_e32 v[22:23], v[20:21], v[18:19]
	v_dual_fma_f64 v[16:17], -v[16:17], v[22:23], v[20:21] :: v_dual_add_nc_u32 v20, s44, v0
	s_delay_alu instid0(VALU_DEP_1) | instskip(NEXT) | instid1(VALU_DEP_1)
	v_ashrrev_i32_e32 v21, 31, v20
	v_lshl_add_u64 v[20:21], v[20:21], 3, s[36:37]
	s_delay_alu instid0(VALU_DEP_3) | instskip(SKIP_3) | instid1(VALU_DEP_1)
	v_div_fmas_f64 v[16:17], v[16:17], v[18:19], v[22:23]
	v_mad_u32 v18, s5, s17, v0
	v_add_nc_u32_e32 v22, s60, v0
	s_mov_b32 s5, 0
	v_ashrrev_i32_e32 v23, 31, v22
	s_delay_alu instid0(VALU_DEP_3) | instskip(NEXT) | instid1(VALU_DEP_2)
	v_ashrrev_i32_e32 v19, 31, v18
	v_lshl_add_u64 v[22:23], v[22:23], 3, s[36:37]
	s_delay_alu instid0(VALU_DEP_2) | instskip(SKIP_2) | instid1(VALU_DEP_1)
	v_lshl_add_u64 v[18:19], v[18:19], 3, s[38:39]
	v_div_fixup_f64 v[14:15], v[16:17], v[14:15], 1.0
	v_mad_u32 v16, s34, s17, v0
	v_ashrrev_i32_e32 v17, 31, v16
	s_delay_alu instid0(VALU_DEP_1)
	v_lshl_add_u64 v[16:17], v[16:17], 3, s[38:39]
.LBB3_196:                              ;   Parent Loop BB3_6 Depth=1
                                        ; =>  This Inner Loop Header: Depth=2
	global_load_b64 v[28:29], v[22:23], off
	global_load_b64 v[30:31], v[20:21], off
	v_add_nc_u32_e32 v26, 0x100, v26
	s_delay_alu instid0(VALU_DEP_1) | instskip(SKIP_3) | instid1(VALU_DEP_1)
	v_cmp_lt_i32_e32 vcc_lo, s6, v26
	s_or_b32 s5, vcc_lo, s5
	s_wait_loadcnt 0x0
	v_fma_f64 v[28:29], v[2:3], v[28:29], -v[30:31]
	v_mul_f64_e32 v[28:29], v[14:15], v[28:29]
	global_store_b64 v[18:19], v[28:29], off
	global_load_b64 v[28:29], v[20:21], off
	global_load_b64 v[30:31], v[22:23], off
	v_add_nc_u64_e32 v[18:19], 0x800, v[18:19]
	s_wait_xcnt 0x1
	v_add_nc_u64_e32 v[20:21], 0x800, v[20:21]
	s_wait_xcnt 0x0
	v_add_nc_u64_e32 v[22:23], 0x800, v[22:23]
	s_wait_loadcnt 0x0
	v_fma_f64 v[28:29], v[4:5], v[28:29], -v[30:31]
	s_delay_alu instid0(VALU_DEP_1)
	v_mul_f64_e32 v[28:29], v[14:15], v[28:29]
	global_store_b64 v[16:17], v[28:29], off
	s_wait_xcnt 0x0
	v_add_nc_u64_e32 v[16:17], 0x800, v[16:17]
	s_and_not1_b32 exec_lo, exec_lo, s5
	s_cbranch_execnz .LBB3_196
.LBB3_197:                              ;   in Loop: Header=BB3_6 Depth=1
	s_or_b32 exec_lo, exec_lo, s7
.LBB3_198:                              ;   in Loop: Header=BB3_6 Depth=1
	s_and_saveexec_b32 s5, s2
	s_cbranch_execz .LBB3_200
; %bb.199:                              ;   in Loop: Header=BB3_6 Depth=1
	s_add_co_i32 s6, s56, -1
	s_ashr_i32 s49, s34, 31
	s_mul_i32 s6, s6, s18
	s_mov_b32 s48, s34
	s_ashr_i32 s7, s6, 31
	s_ashr_i32 s45, s44, 31
	s_add_nc_u64 s[6:7], s[6:7], s[48:49]
	s_delay_alu instid0(SALU_CYCLE_1) | instskip(NEXT) | instid1(SALU_CYCLE_1)
	s_lshl_b64 s[6:7], s[6:7], 3
	s_add_nc_u64 s[6:7], s[36:37], s[6:7]
	global_load_b64 v[2:3], v7, s[6:7] offset:-8
	s_wait_xcnt 0x0
	s_add_co_i32 s6, s34, -1
	s_delay_alu instid0(SALU_CYCLE_1) | instskip(NEXT) | instid1(SALU_CYCLE_1)
	s_mul_i32 s6, s6, s51
	v_mov_b32_e32 v4, s6
	s_add_nc_u64 s[6:7], s[44:45], s[48:49]
	s_delay_alu instid0(SALU_CYCLE_1) | instskip(NEXT) | instid1(SALU_CYCLE_1)
	s_lshl_b64 s[6:7], s[6:7], 3
	s_add_nc_u64 s[6:7], s[36:37], s[6:7]
	s_wait_loadcnt 0x0
	global_store_b64 v4, v[2:3], s[20:21] scale_offset
	global_load_b64 v[2:3], v7, s[6:7] offset:-8
	s_wait_xcnt 0x0
	s_mul_i32 s6, s34, s17
	s_delay_alu instid0(SALU_CYCLE_1) | instskip(NEXT) | instid1(SALU_CYCLE_1)
	s_ashr_i32 s7, s6, 31
	s_add_nc_u64 s[48:49], s[48:49], s[6:7]
	s_add_co_i32 s7, s44, s34
	s_lshl_b64 s[48:49], s[48:49], 3
	v_mov_b32_e32 v4, s7
	s_add_nc_u64 s[48:49], s[20:21], s[48:49]
	s_add_co_i32 s6, s6, s34
	s_wait_loadcnt 0x0
	global_store_b64 v7, v[2:3], s[48:49] offset:-8
	global_load_b64 v[2:3], v4, s[36:37] scale_offset
	s_wait_xcnt 0x0
	v_mov_b32_e32 v4, s6
	s_wait_loadcnt 0x0
	global_store_b64 v4, v[2:3], s[20:21] scale_offset
.LBB3_200:                              ;   in Loop: Header=BB3_6 Depth=1
	s_wait_xcnt 0x0
	s_or_b32 exec_lo, exec_lo, s5
	s_mov_b32 s7, 0
	s_wait_storecnt 0x0
	s_barrier_signal -1
	s_barrier_wait -1
.LBB3_201:                              ;   in Loop: Header=BB3_6 Depth=1
	s_mov_b32 s5, 0
	s_mov_b32 s6, -2
	s_and_b32 vcc_lo, exec_lo, s7
	s_mov_b32 s7, 0
	s_cbranch_vccz .LBB3_208
; %bb.202:                              ;   in Loop: Header=BB3_6 Depth=1
	s_add_co_i32 s6, s44, s34
	s_delay_alu instid0(SALU_CYCLE_1)
	v_mov_b32_e32 v2, s6
	global_load_b64 v[2:3], v2, s[36:37] scale_offset
	s_wait_xcnt 0x0
	s_and_saveexec_b32 s6, s2
	s_cbranch_execz .LBB3_204
; %bb.203:                              ;   in Loop: Header=BB3_6 Depth=1
	s_mul_i32 s7, s34, s51
	s_delay_alu instid0(SALU_CYCLE_1)
	v_mov_b32_e32 v4, s7
	s_wait_loadcnt 0x0
	global_store_b64 v4, v[2:3], s[20:21] scale_offset
.LBB3_204:                              ;   in Loop: Header=BB3_6 Depth=1
	s_wait_xcnt 0x0
	s_or_b32 exec_lo, exec_lo, s6
	s_and_saveexec_b32 s6, s4
	s_cbranch_execz .LBB3_207
; %bb.205:                              ;   in Loop: Header=BB3_6 Depth=1
	s_wait_loadcnt 0x0
	v_div_scale_f64 v[4:5], null, v[2:3], v[2:3], 1.0
	s_mov_b32 s4, 0
	v_rcp_f64_e32 v[14:15], v[4:5]
	v_nop
	s_delay_alu instid0(TRANS32_DEP_1) | instskip(NEXT) | instid1(VALU_DEP_1)
	v_fma_f64 v[16:17], -v[4:5], v[14:15], 1.0
	v_fmac_f64_e32 v[14:15], v[14:15], v[16:17]
	s_delay_alu instid0(VALU_DEP_1) | instskip(NEXT) | instid1(VALU_DEP_1)
	v_fma_f64 v[16:17], -v[4:5], v[14:15], 1.0
	v_fmac_f64_e32 v[14:15], v[14:15], v[16:17]
	v_div_scale_f64 v[16:17], vcc_lo, 1.0, v[2:3], 1.0
	s_delay_alu instid0(VALU_DEP_1) | instskip(NEXT) | instid1(VALU_DEP_1)
	v_mul_f64_e32 v[18:19], v[16:17], v[14:15]
	v_fma_f64 v[4:5], -v[4:5], v[18:19], v[16:17]
	v_mov_b32_e32 v16, v0
	s_delay_alu instid0(VALU_DEP_2) | instskip(SKIP_1) | instid1(VALU_DEP_1)
	v_div_fmas_f64 v[4:5], v[4:5], v[14:15], v[18:19]
	v_add_nc_u32_e32 v14, s44, v0
	v_ashrrev_i32_e32 v15, 31, v14
	s_delay_alu instid0(VALU_DEP_1) | instskip(NEXT) | instid1(VALU_DEP_4)
	v_lshl_add_u64 v[14:15], v[14:15], 3, s[36:37]
	v_div_fixup_f64 v[2:3], v[4:5], v[2:3], 1.0
	v_mad_u32 v4, s34, s17, v0
	s_delay_alu instid0(VALU_DEP_1) | instskip(NEXT) | instid1(VALU_DEP_1)
	v_ashrrev_i32_e32 v5, 31, v4
	v_lshl_add_u64 v[4:5], v[4:5], 3, s[38:39]
.LBB3_206:                              ;   Parent Loop BB3_6 Depth=1
                                        ; =>  This Inner Loop Header: Depth=2
	global_load_b64 v[18:19], v[14:15], off
	v_add_nc_u32_e32 v16, 0x100, v16
	s_wait_xcnt 0x0
	v_add_nc_u64_e32 v[14:15], 0x800, v[14:15]
	s_delay_alu instid0(VALU_DEP_2)
	v_cmp_le_i32_e32 vcc_lo, s34, v16
	s_or_b32 s4, vcc_lo, s4
	s_wait_loadcnt 0x0
	v_mul_f64_e32 v[18:19], v[2:3], v[18:19]
	global_store_b64 v[4:5], v[18:19], off
	s_wait_xcnt 0x0
	v_add_nc_u64_e32 v[4:5], 0x800, v[4:5]
	s_and_not1_b32 exec_lo, exec_lo, s4
	s_cbranch_execnz .LBB3_206
.LBB3_207:                              ;   in Loop: Header=BB3_6 Depth=1
	s_or_b32 exec_lo, exec_lo, s6
	s_wait_loadcnt 0x0
	s_wait_storecnt 0x0
	s_barrier_signal -1
	s_barrier_wait -1
	s_mov_b32 s7, -1
	s_mov_b32 s6, -1
.LBB3_208:                              ;   in Loop: Header=BB3_6 Depth=1
	s_and_b32 vcc_lo, exec_lo, s5
	s_cbranch_vccz .LBB3_212
; %bb.209:                              ;   in Loop: Header=BB3_6 Depth=1
	ds_load_b32 v2, v7 offset:3100
	s_wait_dscnt 0x0
	v_readfirstlane_b32 s4, v2
	s_cmp_eq_u32 s4, 0
	s_cselect_b32 s4, -1, 0
	s_delay_alu instid0(SALU_CYCLE_1) | instskip(NEXT) | instid1(SALU_CYCLE_1)
	s_and_b32 s5, s2, s4
	s_and_saveexec_b32 s4, s5
; %bb.210:                              ;   in Loop: Header=BB3_6 Depth=1
	s_add_co_i32 s5, s34, 1
	s_delay_alu instid0(SALU_CYCLE_1)
	v_mov_b32_e32 v2, s5
	ds_store_b32 v7, v2 offset:3100
; %bb.211:                              ;   in Loop: Header=BB3_6 Depth=1
	s_or_b32 exec_lo, exec_lo, s4
	s_mov_b32 s6, -1
	s_mov_b32 s7, -1
	s_mov_b32 s47, s34
.LBB3_212:                              ;   in Loop: Header=BB3_6 Depth=1
	s_and_saveexec_b32 s44, s2
	s_cbranch_execz .LBB3_4
; %bb.213:                              ;   in Loop: Header=BB3_6 Depth=1
	s_lshl_b64 s[4:5], s[34:35], 2
	s_xor_b32 s7, s7, -1
	s_add_nc_u64 s[4:5], s[8:9], s[4:5]
	s_and_b32 vcc_lo, exec_lo, s7
	s_mov_b32 s7, -1
	s_cbranch_vccz .LBB3_215
; %bb.214:                              ;   in Loop: Header=BB3_6 Depth=1
	s_not_b32 s7, s47
	s_delay_alu instid0(SALU_CYCLE_1)
	v_dual_mov_b32 v2, s7 :: v_dual_mov_b32 v3, s7
	s_mov_b32 s7, 0
	global_store_b64 v7, v[2:3], s[4:5] offset:-4
.LBB3_215:                              ;   in Loop: Header=BB3_6 Depth=1
	s_and_not1_b32 vcc_lo, exec_lo, s7
	s_cbranch_vccnz .LBB3_4
; %bb.216:                              ;   in Loop: Header=BB3_6 Depth=1
	s_add_co_i32 s7, s47, 1
	s_wait_xcnt 0x0
	v_mov_b32_e32 v2, s7
	global_store_b32 v7, v2, s[4:5]
	s_branch .LBB3_4
.LBB3_217:                              ;   in Loop: Header=BB3_6 Depth=1
	s_mov_b32 s5, 0
	s_mov_b32 s45, -2
	s_delay_alu instid0(SALU_CYCLE_1) | instskip(NEXT) | instid1(SALU_CYCLE_1)
	s_add_co_i32 s6, s45, s34
	s_add_co_i32 s46, s6, 1
	s_delay_alu instid0(SALU_CYCLE_1)
	s_cmp_eq_u32 s47, s46
	s_cbranch_scc0 .LBB3_177
	s_branch .LBB3_192
.LBB3_218:
	s_add_co_i32 s1, s56, 1
.LBB3_219:
	s_and_saveexec_b32 s0, s2
	s_cbranch_execz .LBB3_221
; %bb.220:
	s_not_b32 s2, s34
	s_delay_alu instid0(SALU_CYCLE_1) | instskip(NEXT) | instid1(SALU_CYCLE_1)
	s_add_co_i32 s2, s18, s2
	v_dual_mov_b32 v2, 0 :: v_dual_mov_b32 v4, s2
	s_lshl_b64 s[2:3], s[30:31], 2
	s_delay_alu instid0(SALU_CYCLE_1)
	s_add_nc_u64 s[4:5], s[12:13], s[2:3]
	ds_load_b32 v3, v2 offset:3100
	s_add_nc_u64 s[2:3], s[10:11], s[2:3]
	global_store_b32 v2, v4, s[4:5]
	s_wait_dscnt 0x0
	global_store_b32 v2, v3, s[2:3]
.LBB3_221:
	s_wait_xcnt 0x0
	s_or_b32 exec_lo, exec_lo, s0
	s_abs_i32 s0, s19
	s_abs_i32 s4, s34
	s_cvt_f32_u32 s2, s0
	s_sub_co_i32 s3, 0, s0
	s_delay_alu instid0(SALU_CYCLE_2) | instskip(SKIP_1) | instid1(TRANS32_DEP_1)
	v_rcp_iflag_f32_e32 v2, s2
	v_nop
	v_readfirstlane_b32 s2, v2
	s_mul_f32 s2, s2, 0x4f7ffffe
	s_delay_alu instid0(SALU_CYCLE_3) | instskip(NEXT) | instid1(SALU_CYCLE_3)
	s_cvt_u32_f32 s2, s2
	s_mul_i32 s3, s3, s2
	s_delay_alu instid0(SALU_CYCLE_1) | instskip(NEXT) | instid1(SALU_CYCLE_1)
	s_mul_hi_u32 s3, s2, s3
	s_add_co_i32 s2, s2, s3
	s_ashr_i32 s3, s34, 31
	s_mul_hi_u32 s2, s4, s2
	s_delay_alu instid0(SALU_CYCLE_1) | instskip(NEXT) | instid1(SALU_CYCLE_1)
	s_mul_i32 s2, s2, s0
	s_sub_co_i32 s2, s4, s2
	s_delay_alu instid0(SALU_CYCLE_1) | instskip(SKIP_2) | instid1(SALU_CYCLE_1)
	s_sub_co_i32 s4, s2, s0
	s_cmp_ge_u32 s2, s0
	s_cselect_b32 s2, s4, s2
	s_sub_co_i32 s4, s2, s0
	s_cmp_ge_u32 s2, s0
	s_cselect_b32 s0, s4, s2
	s_add_co_i32 s30, s34, 1
	s_xor_b32 s0, s0, s3
	s_delay_alu instid0(SALU_CYCLE_1) | instskip(SKIP_2) | instid1(SALU_CYCLE_1)
	s_sub_co_i32 s0, s3, s0
	s_mov_b32 s3, 0
	s_add_co_i32 s0, s34, s0
	s_cmp_lt_i32 s0, 0
	s_cbranch_scc1 .LBB3_240
; %bb.222:
	s_not_b32 s2, s34
	s_mul_i32 s4, s30, s17
	s_mul_i32 s6, s1, s18
	s_add_co_i32 s31, s18, s2
	s_ashr_i32 s5, s4, 31
	s_ashr_i32 s7, s6, 31
	s_cmp_gt_i32 s31, 0
	v_mov_b32_e32 v7, 0
	s_cselect_b32 s33, -1, 0
	s_lshl_b64 s[10:11], s[28:29], 3
	s_lshl_b64 s[6:7], s[6:7], 3
	;; [unrolled: 1-line block ×3, first 2 shown]
	s_add_nc_u64 s[6:7], s[10:11], s[6:7]
	s_add_nc_u64 s[10:11], s[26:27], s[24:25]
	;; [unrolled: 1-line block ×4, first 2 shown]
	s_ashr_i32 s13, s18, 31
	s_add_nc_u64 s[10:11], s[14:15], s[10:11]
	s_mov_b32 s12, s18
	v_add_nc_u64_e32 v[2:3], s[10:11], v[6:7]
	s_ashr_i32 s15, s17, 31
	s_mov_b32 s14, s17
	s_add_nc_u64 s[6:7], s[22:23], s[6:7]
	s_lshl_b64 s[10:11], s[12:13], 3
	s_lshl_b64 s[12:13], s[14:15], 3
	s_branch .LBB3_224
.LBB3_223:                              ;   in Loop: Header=BB3_224 Depth=1
	s_or_b32 exec_lo, exec_lo, s24
	s_sub_co_i32 s0, s0, s19
	s_delay_alu instid0(SALU_CYCLE_1)
	s_cmp_gt_i32 s0, -1
	s_cbranch_scc0 .LBB3_240
.LBB3_224:                              ; =>This Loop Header: Depth=1
                                        ;     Child Loop BB3_227 Depth 2
                                        ;       Child Loop BB3_230 Depth 3
                                        ;         Child Loop BB3_232 Depth 4
                                        ;     Child Loop BB3_237 Depth 2
                                        ;       Child Loop BB3_239 Depth 3
	s_sub_co_i32 s2, s30, s0
	s_mov_b32 s1, s3
	s_min_i32 s2, s2, s19
	s_lshl_b64 s[22:23], s[0:1], 3
	s_cmp_lt_i32 s2, 1
	s_add_nc_u64 s[14:15], s[6:7], s[22:23]
	s_cbranch_scc1 .LBB3_233
; %bb.225:                              ;   in Loop: Header=BB3_224 Depth=1
	v_add_nc_u64_e32 v[4:5], s[22:23], v[2:3]
	s_add_co_i32 s1, s2, s0
	s_add_nc_u64 s[22:23], s[20:21], s[22:23]
	s_mov_b64 s[24:25], s[14:15]
	s_mov_b32 s34, s0
	s_branch .LBB3_227
.LBB3_226:                              ;   in Loop: Header=BB3_227 Depth=2
	s_or_b32 exec_lo, exec_lo, s36
	s_add_co_i32 s34, s34, 1
	s_add_nc_u64 s[24:25], s[24:25], 8
	s_cmp_lt_i32 s34, s1
	s_cbranch_scc0 .LBB3_233
.LBB3_227:                              ;   Parent Loop BB3_224 Depth=1
                                        ; =>  This Loop Header: Depth=2
                                        ;       Child Loop BB3_230 Depth 3
                                        ;         Child Loop BB3_232 Depth 4
	s_sub_co_i32 s35, s34, s0
	s_mov_b32 s36, exec_lo
	v_cmpx_ge_i32_e64 s35, v0
	s_cbranch_execz .LBB3_226
; %bb.228:                              ;   in Loop: Header=BB3_227 Depth=2
	s_mul_i32 s26, s34, s17
	v_mov_b64_e32 v[8:9], v[4:5]
	s_ashr_i32 s27, s26, 31
	v_mov_b32_e32 v6, v0
	s_lshl_b64 s[26:27], s[26:27], 3
	s_mov_b32 s37, 0
	s_add_nc_u64 s[26:27], s[22:23], s[26:27]
	s_branch .LBB3_230
.LBB3_229:                              ;   in Loop: Header=BB3_230 Depth=3
	global_load_b64 v[12:13], v6, s[26:27] scale_offset
	v_add_nc_u64_e32 v[8:9], 0x800, v[8:9]
	s_wait_loadcnt 0x0
	v_add_f64_e64 v[10:11], v[12:13], -v[10:11]
	global_store_b64 v6, v[10:11], s[26:27] scale_offset
	s_wait_xcnt 0x0
	v_add_nc_u32_e32 v6, 0x100, v6
	s_delay_alu instid0(VALU_DEP_1) | instskip(SKIP_1) | instid1(SALU_CYCLE_1)
	v_cmp_lt_i32_e32 vcc_lo, s35, v6
	s_or_b32 s37, vcc_lo, s37
	s_and_not1_b32 exec_lo, exec_lo, s37
	s_cbranch_execz .LBB3_226
.LBB3_230:                              ;   Parent Loop BB3_224 Depth=1
                                        ;     Parent Loop BB3_227 Depth=2
                                        ; =>    This Loop Header: Depth=3
                                        ;         Child Loop BB3_232 Depth 4
	v_mov_b64_e32 v[10:11], 0
	s_and_not1_b32 vcc_lo, exec_lo, s33
	s_cbranch_vccnz .LBB3_229
; %bb.231:                              ;   in Loop: Header=BB3_230 Depth=3
	v_mov_b64_e32 v[12:13], v[8:9]
	s_mov_b64 s[28:29], s[24:25]
	s_mov_b32 s38, s31
.LBB3_232:                              ;   Parent Loop BB3_224 Depth=1
                                        ;     Parent Loop BB3_227 Depth=2
                                        ;       Parent Loop BB3_230 Depth=3
                                        ; =>      This Inner Loop Header: Depth=4
	global_load_b64 v[14:15], v[12:13], off
	global_load_b64 v[16:17], v7, s[28:29]
	s_wait_xcnt 0x1
	v_add_nc_u64_e32 v[12:13], s[12:13], v[12:13]
	s_add_co_i32 s38, s38, -1
	s_wait_xcnt 0x0
	s_add_nc_u64 s[28:29], s[28:29], s[10:11]
	s_cmp_eq_u32 s38, 0
	s_wait_loadcnt 0x0
	v_fmac_f64_e32 v[10:11], v[14:15], v[16:17]
	s_cbranch_scc0 .LBB3_232
	s_branch .LBB3_229
.LBB3_233:                              ;   in Loop: Header=BB3_224 Depth=1
	s_mul_i32 s1, s2, s0
	s_mov_b32 s24, exec_lo
	v_cmpx_gt_i32_e64 s1, v0
	s_cbranch_execz .LBB3_223
; %bb.234:                              ;   in Loop: Header=BB3_224 Depth=1
	s_cvt_f32_u32 s2, s0
	s_mul_i32 s22, s0, s17
	s_sub_co_i32 s25, 0, s0
	s_ashr_i32 s23, s22, 31
	v_rcp_iflag_f32_e32 v4, s2
	v_mov_b32_e32 v6, v0
	s_lshl_b64 s[22:23], s[22:23], 3
	s_delay_alu instid0(SALU_CYCLE_1) | instskip(NEXT) | instid1(TRANS32_DEP_1)
	s_add_nc_u64 s[22:23], s[20:21], s[22:23]
	v_readfirstlane_b32 s2, v4
	s_mul_f32 s2, s2, 0x4f7ffffe
	s_delay_alu instid0(SALU_CYCLE_3) | instskip(NEXT) | instid1(SALU_CYCLE_3)
	s_cvt_u32_f32 s2, s2
	s_mul_i32 s25, s25, s2
	s_delay_alu instid0(SALU_CYCLE_1)
	s_mul_hi_u32 s26, s2, s25
	s_mov_b32 s25, 0
	s_add_co_i32 s2, s2, s26
	s_branch .LBB3_237
.LBB3_235:                              ;   in Loop: Header=BB3_237 Depth=2
	v_mov_b64_e32 v[8:9], 0
.LBB3_236:                              ;   in Loop: Header=BB3_237 Depth=2
	s_delay_alu instid0(VALU_DEP_2) | instskip(SKIP_1) | instid1(VALU_DEP_1)
	v_mad_u32 v10, v4, s17, v12
	v_add_nc_u32_e32 v6, 0x100, v6
	v_cmp_le_i32_e32 vcc_lo, s1, v6
	s_or_b32 s25, vcc_lo, s25
	global_load_b64 v[4:5], v10, s[22:23] scale_offset
	s_wait_loadcnt 0x0
	v_add_f64_e64 v[4:5], v[4:5], -v[8:9]
	global_store_b64 v10, v[4:5], s[22:23] scale_offset
	s_wait_xcnt 0x0
	s_and_not1_b32 exec_lo, exec_lo, s25
	s_cbranch_execz .LBB3_223
.LBB3_237:                              ;   Parent Loop BB3_224 Depth=1
                                        ; =>  This Loop Header: Depth=2
                                        ;       Child Loop BB3_239 Depth 3
	v_mul_u64_e32 v[4:5], s[2:3], v[6:7]
	s_delay_alu instid0(VALU_DEP_1) | instskip(NEXT) | instid1(VALU_DEP_1)
	v_mul_lo_u32 v4, v5, s0
	v_dual_add_nc_u32 v8, 1, v5 :: v_dual_sub_nc_u32 v4, v6, v4
	s_delay_alu instid0(VALU_DEP_1) | instskip(SKIP_1) | instid1(VALU_DEP_2)
	v_subrev_nc_u32_e32 v9, s0, v4
	v_cmp_le_u32_e32 vcc_lo, s0, v4
	v_dual_cndmask_b32 v5, v5, v8 :: v_dual_cndmask_b32 v4, v4, v9
	s_delay_alu instid0(VALU_DEP_1) | instskip(NEXT) | instid1(VALU_DEP_2)
	v_add_nc_u32_e32 v8, 1, v5
	v_cmp_le_u32_e32 vcc_lo, s0, v4
	s_delay_alu instid0(VALU_DEP_2) | instskip(SKIP_1) | instid1(VALU_DEP_1)
	v_cndmask_b32_e32 v4, v5, v8, vcc_lo
	s_and_not1_b32 vcc_lo, exec_lo, s33
	v_mul_lo_u32 v5, v4, s0
	s_delay_alu instid0(VALU_DEP_1)
	v_sub_nc_u32_e32 v12, v6, v5
	s_cbranch_vccnz .LBB3_235
; %bb.238:                              ;   in Loop: Header=BB3_237 Depth=2
	v_ashrrev_i32_e32 v5, 31, v4
	v_mov_b64_e32 v[8:9], 0
	s_mov_b32 s26, s31
	s_delay_alu instid0(VALU_DEP_2)
	v_lshl_add_u64 v[10:11], v[4:5], 3, s[14:15]
	v_mov_b32_e32 v5, v12
.LBB3_239:                              ;   Parent Loop BB3_224 Depth=1
                                        ;     Parent Loop BB3_237 Depth=2
                                        ; =>    This Inner Loop Header: Depth=3
	global_load_b64 v[14:15], v5, s[4:5] scale_offset
	global_load_b64 v[16:17], v[10:11], off
	s_wait_xcnt 0x0
	v_add_nc_u64_e32 v[10:11], s[10:11], v[10:11]
	v_add_nc_u32_e32 v5, s17, v5
	s_add_co_i32 s26, s26, -1
	s_delay_alu instid0(SALU_CYCLE_1)
	s_cmp_eq_u32 s26, 0
	s_wait_loadcnt 0x0
	v_fmac_f64_e32 v[8:9], v[14:15], v[16:17]
	s_cbranch_scc0 .LBB3_239
	s_branch .LBB3_236
.LBB3_240:
	s_cmp_ge_i32 s30, s16
	s_wait_storecnt_dscnt 0x0
	s_barrier_signal -1
	s_barrier_wait -1
	s_cbranch_scc1 .LBB3_248
; %bb.241:
	s_lshl_b32 s0, s17, 8
	s_branch .LBB3_244
.LBB3_242:                              ;   in Loop: Header=BB3_244 Depth=1
	s_or_b32 exec_lo, exec_lo, s4
	s_wait_storecnt 0x0
	s_barrier_signal -1
	s_barrier_wait -1
.LBB3_243:                              ;   in Loop: Header=BB3_244 Depth=1
	s_cmp_lt_i32 s1, s16
	s_mov_b32 s30, s1
	s_cbranch_scc0 .LBB3_248
.LBB3_244:                              ; =>This Loop Header: Depth=1
                                        ;     Child Loop BB3_247 Depth 2
	v_mov_b32_e32 v2, s30
	global_load_b32 v2, v2, s[8:9] scale_offset
	s_wait_loadcnt 0x0
	v_readfirstlane_b32 s1, v2
	s_not_b32 s2, s1
	s_add_co_i32 s3, s1, -1
	s_cmp_lt_i32 s1, 0
	s_cselect_b32 s2, s2, s3
	s_lshr_b32 s5, s1, 31
	s_delay_alu instid0(SALU_CYCLE_1) | instskip(NEXT) | instid1(SALU_CYCLE_1)
	s_add_co_i32 s1, s30, s5
	s_add_co_i32 s1, s1, 1
	s_cmp_eq_u32 s2, s30
	s_cselect_b32 s3, -1, 0
	s_cmp_le_i32 s18, s1
	s_cselect_b32 s4, -1, 0
	s_delay_alu instid0(SALU_CYCLE_1) | instskip(NEXT) | instid1(SALU_CYCLE_1)
	s_or_b32 s3, s3, s4
	s_and_b32 vcc_lo, exec_lo, s3
	s_cbranch_vccnz .LBB3_243
; %bb.245:                              ;   in Loop: Header=BB3_244 Depth=1
	s_sub_co_i32 s3, s18, s1
	s_mov_b32 s4, exec_lo
	v_cmpx_gt_i32_e64 s3, v0
	s_cbranch_execz .LBB3_242
; %bb.246:                              ;   in Loop: Header=BB3_244 Depth=1
	v_add3_u32 v2, s5, s30, v1
	v_mov_b32_e32 v3, v0
	s_mov_b32 s5, 0
	s_delay_alu instid0(VALU_DEP_2)
	v_mul_lo_u32 v2, s17, v2
.LBB3_247:                              ;   Parent Loop BB3_244 Depth=1
                                        ; =>  This Inner Loop Header: Depth=2
	s_delay_alu instid0(VALU_DEP_1) | instskip(NEXT) | instid1(VALU_DEP_3)
	v_dual_add_nc_u32 v8, s30, v2 :: v_dual_add_nc_u32 v9, s2, v2
	v_add_nc_u32_e32 v3, 0x100, v3
	v_add_nc_u32_e32 v2, s0, v2
	s_clause 0x1
	global_load_b64 v[4:5], v8, s[20:21] scale_offset
	global_load_b64 v[6:7], v9, s[20:21] scale_offset
	s_wait_loadcnt 0x1
	global_store_b64 v9, v[4:5], s[20:21] scale_offset
	s_wait_loadcnt 0x0
	global_store_b64 v8, v[6:7], s[20:21] scale_offset
	v_cmp_le_i32_e32 vcc_lo, s3, v3
	s_or_b32 s5, vcc_lo, s5
	s_wait_xcnt 0x0
	s_and_not1_b32 exec_lo, exec_lo, s5
	s_cbranch_execnz .LBB3_247
	s_branch .LBB3_242
.LBB3_248:
	s_endpgm
	.section	.rodata,"a",@progbits
	.p2align	6, 0x0
	.amdhsa_kernel _ZN9rocsolver6v33100L18lasyf_kernel_upperIdPdEEviiPiT0_iilS3_lS3_PT_
		.amdhsa_group_segment_fixed_size 3104
		.amdhsa_private_segment_fixed_size 0
		.amdhsa_kernarg_size 72
		.amdhsa_user_sgpr_count 2
		.amdhsa_user_sgpr_dispatch_ptr 0
		.amdhsa_user_sgpr_queue_ptr 0
		.amdhsa_user_sgpr_kernarg_segment_ptr 1
		.amdhsa_user_sgpr_dispatch_id 0
		.amdhsa_user_sgpr_kernarg_preload_length 0
		.amdhsa_user_sgpr_kernarg_preload_offset 0
		.amdhsa_user_sgpr_private_segment_size 0
		.amdhsa_wavefront_size32 1
		.amdhsa_uses_dynamic_stack 0
		.amdhsa_enable_private_segment 0
		.amdhsa_system_sgpr_workgroup_id_x 1
		.amdhsa_system_sgpr_workgroup_id_y 1
		.amdhsa_system_sgpr_workgroup_id_z 0
		.amdhsa_system_sgpr_workgroup_info 0
		.amdhsa_system_vgpr_workitem_id 0
		.amdhsa_next_free_vgpr 34
		.amdhsa_next_free_sgpr 62
		.amdhsa_named_barrier_count 0
		.amdhsa_reserve_vcc 1
		.amdhsa_float_round_mode_32 0
		.amdhsa_float_round_mode_16_64 0
		.amdhsa_float_denorm_mode_32 3
		.amdhsa_float_denorm_mode_16_64 3
		.amdhsa_fp16_overflow 0
		.amdhsa_memory_ordered 1
		.amdhsa_forward_progress 1
		.amdhsa_inst_pref_size 76
		.amdhsa_round_robin_scheduling 0
		.amdhsa_exception_fp_ieee_invalid_op 0
		.amdhsa_exception_fp_denorm_src 0
		.amdhsa_exception_fp_ieee_div_zero 0
		.amdhsa_exception_fp_ieee_overflow 0
		.amdhsa_exception_fp_ieee_underflow 0
		.amdhsa_exception_fp_ieee_inexact 0
		.amdhsa_exception_int_div_zero 0
	.end_amdhsa_kernel
	.section	.text._ZN9rocsolver6v33100L18lasyf_kernel_upperIdPdEEviiPiT0_iilS3_lS3_PT_,"axG",@progbits,_ZN9rocsolver6v33100L18lasyf_kernel_upperIdPdEEviiPiT0_iilS3_lS3_PT_,comdat
.Lfunc_end3:
	.size	_ZN9rocsolver6v33100L18lasyf_kernel_upperIdPdEEviiPiT0_iilS3_lS3_PT_, .Lfunc_end3-_ZN9rocsolver6v33100L18lasyf_kernel_upperIdPdEEviiPiT0_iilS3_lS3_PT_
                                        ; -- End function
	.set _ZN9rocsolver6v33100L18lasyf_kernel_upperIdPdEEviiPiT0_iilS3_lS3_PT_.num_vgpr, 34
	.set _ZN9rocsolver6v33100L18lasyf_kernel_upperIdPdEEviiPiT0_iilS3_lS3_PT_.num_agpr, 0
	.set _ZN9rocsolver6v33100L18lasyf_kernel_upperIdPdEEviiPiT0_iilS3_lS3_PT_.numbered_sgpr, 62
	.set _ZN9rocsolver6v33100L18lasyf_kernel_upperIdPdEEviiPiT0_iilS3_lS3_PT_.num_named_barrier, 0
	.set _ZN9rocsolver6v33100L18lasyf_kernel_upperIdPdEEviiPiT0_iilS3_lS3_PT_.private_seg_size, 0
	.set _ZN9rocsolver6v33100L18lasyf_kernel_upperIdPdEEviiPiT0_iilS3_lS3_PT_.uses_vcc, 1
	.set _ZN9rocsolver6v33100L18lasyf_kernel_upperIdPdEEviiPiT0_iilS3_lS3_PT_.uses_flat_scratch, 0
	.set _ZN9rocsolver6v33100L18lasyf_kernel_upperIdPdEEviiPiT0_iilS3_lS3_PT_.has_dyn_sized_stack, 0
	.set _ZN9rocsolver6v33100L18lasyf_kernel_upperIdPdEEviiPiT0_iilS3_lS3_PT_.has_recursion, 0
	.set _ZN9rocsolver6v33100L18lasyf_kernel_upperIdPdEEviiPiT0_iilS3_lS3_PT_.has_indirect_call, 0
	.section	.AMDGPU.csdata,"",@progbits
; Kernel info:
; codeLenInByte = 9644
; TotalNumSgprs: 64
; NumVgprs: 34
; ScratchSize: 0
; MemoryBound: 0
; FloatMode: 240
; IeeeMode: 1
; LDSByteSize: 3104 bytes/workgroup (compile time only)
; SGPRBlocks: 0
; VGPRBlocks: 2
; NumSGPRsForWavesPerEU: 64
; NumVGPRsForWavesPerEU: 34
; NamedBarCnt: 0
; Occupancy: 16
; WaveLimiterHint : 1
; COMPUTE_PGM_RSRC2:SCRATCH_EN: 0
; COMPUTE_PGM_RSRC2:USER_SGPR: 2
; COMPUTE_PGM_RSRC2:TRAP_HANDLER: 0
; COMPUTE_PGM_RSRC2:TGID_X_EN: 1
; COMPUTE_PGM_RSRC2:TGID_Y_EN: 1
; COMPUTE_PGM_RSRC2:TGID_Z_EN: 0
; COMPUTE_PGM_RSRC2:TIDIG_COMP_CNT: 0
	.section	.text._ZN9rocsolver6v33100L18lasyf_kernel_lowerIdPdEEviiPiT0_iilS3_lS3_PT_,"axG",@progbits,_ZN9rocsolver6v33100L18lasyf_kernel_lowerIdPdEEviiPiT0_iilS3_lS3_PT_,comdat
	.globl	_ZN9rocsolver6v33100L18lasyf_kernel_lowerIdPdEEviiPiT0_iilS3_lS3_PT_ ; -- Begin function _ZN9rocsolver6v33100L18lasyf_kernel_lowerIdPdEEviiPiT0_iilS3_lS3_PT_
	.p2align	8
	.type	_ZN9rocsolver6v33100L18lasyf_kernel_lowerIdPdEEviiPiT0_iilS3_lS3_PT_,@function
_ZN9rocsolver6v33100L18lasyf_kernel_lowerIdPdEEviiPiT0_iilS3_lS3_PT_: ; @_ZN9rocsolver6v33100L18lasyf_kernel_lowerIdPdEEviiPiT0_iilS3_lS3_PT_
; %bb.0:
	v_cmp_eq_u32_e64 s2, 0, v0
	s_and_saveexec_b32 s3, s2
; %bb.1:
	v_mov_b32_e32 v1, 0
	ds_store_b32 v1, v1 offset:3100
; %bb.2:
	s_or_b32 exec_lo, exec_lo, s3
	s_clause 0x4
	s_load_b64 s[18:19], s[0:1], 0x18
	s_load_b64 s[20:21], s[0:1], 0x0
	s_load_b256 s[4:11], s[0:1], 0x20
	s_load_b128 s[12:15], s[0:1], 0x8
	s_load_b64 s[24:25], s[0:1], 0x40
	s_wait_xcnt 0x0
	s_bfe_u32 s0, ttmp6, 0x40010
	s_bfe_u32 s1, ttmp6, 0x40004
	s_add_co_i32 s0, s0, 1
	s_getreg_b32 s3, hwreg(HW_REG_IB_STS2, 6, 4)
	s_mul_i32 s0, ttmp7, s0
	v_lshlrev_b32_e32 v8, 3, v0
	s_add_co_i32 s16, s1, s0
	s_wait_kmcnt 0x0
	s_ashr_i32 s1, s18, 31
	s_cmp_eq_u32 s3, 0
	v_mul_lo_u32 v1, v0, s19
	s_cselect_b32 s34, ttmp7, s16
	s_mov_b32 s0, s18
	s_ashr_i32 s35, s34, 31
	s_mul_i32 s3, s20, s34
	s_lshl_b64 s[26:27], s[0:1], 3
	s_mul_u64 s[0:1], s[4:5], s[34:35]
	s_mul_i32 s4, s3, s21
	s_mul_u64 s[8:9], s[8:9], s[34:35]
	s_lshl_b64 s[30:31], s[0:1], 3
	s_ashr_i32 s5, s4, 31
	s_lshl_b64 s[0:1], s[8:9], 2
	s_add_nc_u64 s[8:9], s[14:15], s[30:31]
	s_lshl_b64 s[28:29], s[4:5], 3
	s_cmp_lt_i32 s20, 1
	s_add_nc_u64 s[8:9], s[8:9], s[26:27]
	s_add_nc_u64 s[22:23], s[24:25], s[28:29]
	s_add_nc_u64 s[16:17], s[6:7], s[0:1]
	s_cbranch_scc1 .LBB4_248
; %bb.3:
	v_mul_lo_u32 v12, v0, s20
	v_dual_add_nc_u32 v37, 2, v0 :: v_dual_mov_b32 v11, 0
	s_add_nc_u64 s[36:37], s[24:25], s[28:29]
	s_add_nc_u64 s[4:5], s[30:31], s[26:27]
	s_add_co_i32 s18, s21, -1
	s_add_nc_u64 s[38:39], s[14:15], s[4:5]
	v_mov_b32_e32 v9, v11
	s_cmp_eq_u32 s21, s20
	s_mov_b32 s4, s19
	s_cselect_b32 s33, -1, 0
	s_delay_alu instid0(VALU_DEP_3)
	v_ashrrev_i32_e32 v13, 31, v12
	v_add_nc_u64_e32 v[14:15], s[36:37], v[8:9]
	v_add_nc_u64_e32 v[16:17], s[38:39], v[8:9]
	v_mul_lo_u32 v9, v0, s19
	s_ashr_i32 s5, s19, 31
	v_lshl_or_b32 v36, v0, 2, 0x800
	s_lshl_b64 s[44:45], s[4:5], 3
	s_lshl_b32 s4, s20, 8
	v_add_nc_u64_e32 v[18:19], 8, v[14:15]
	v_cmp_gt_u32_e64 s0, 0x80, v0
	v_cmp_gt_u32_e64 s1, 64, v0
	;; [unrolled: 1-line block ×3, first 2 shown]
	v_dual_add_nc_u32 v38, s19, v37 :: v_dual_mov_b32 v6, v11
	s_mov_b32 s41, 0
	s_mov_b32 s40, s20
	s_ashr_i32 s5, s4, 31
	s_add_co_i32 s48, s20, -1
	s_add_co_i32 s49, s19, 1
	s_add_co_i32 s50, s20, -2
	s_add_co_i32 s51, s20, 1
	s_lshl_b64 s[42:43], s[40:41], 3
	s_lshl_b32 s40, s19, 8
	s_lshl_b64 s[46:47], s[4:5], 3
                                        ; implicit-def: $sgpr52
	s_branch .LBB4_6
.LBB4_4:                                ;   in Loop: Header=BB4_6 Depth=1
	s_wait_xcnt 0x0
	s_or_b32 exec_lo, exec_lo, s4
	v_add_nc_u32_e32 v6, v4, v6
	s_and_not1_b32 s4, s52, exec_lo
	s_delay_alu instid0(VALU_DEP_1) | instskip(SKIP_1) | instid1(SALU_CYCLE_1)
	v_cmp_le_i32_e32 vcc_lo, s20, v6
	s_and_b32 s5, vcc_lo, exec_lo
	s_or_b32 s52, s4, s5
.LBB4_5:                                ;   in Loop: Header=BB4_6 Depth=1
	s_or_b32 exec_lo, exec_lo, s53
	s_delay_alu instid0(SALU_CYCLE_1) | instskip(NEXT) | instid1(SALU_CYCLE_1)
	s_and_b32 s4, exec_lo, s52
	s_or_b32 s41, s4, s41
	s_delay_alu instid0(SALU_CYCLE_1)
	s_and_not1_b32 exec_lo, exec_lo, s41
	s_cbranch_execz .LBB4_216
.LBB4_6:                                ; =>This Loop Header: Depth=1
                                        ;     Child Loop BB4_11 Depth 2
                                        ;     Child Loop BB4_16 Depth 2
                                        ;       Child Loop BB4_18 Depth 3
                                        ;     Child Loop BB4_22 Depth 2
                                        ;     Child Loop BB4_66 Depth 2
	;; [unrolled: 1-line block ×4, first 2 shown]
                                        ;       Child Loop BB4_78 Depth 3
                                        ;     Child Loop BB4_83 Depth 2
                                        ;     Child Loop BB4_126 Depth 2
	;; [unrolled: 1-line block ×9, first 2 shown]
	v_cmp_gt_i32_e32 vcc_lo, s18, v6
	s_or_b32 s52, s52, exec_lo
	s_or_b32 s4, s33, vcc_lo
	s_delay_alu instid0(SALU_CYCLE_1)
	s_and_saveexec_b32 s53, s4
	s_cbranch_execz .LBB4_5
; %bb.7:                                ;   in Loop: Header=BB4_6 Depth=1
	v_mul_lo_u32 v22, v6, s20
	v_sub_nc_u32_e32 v40, s20, v6
	s_mov_b32 s4, exec_lo
	s_delay_alu instid0(VALU_DEP_1)
	v_cmp_lt_i32_e64 s5, v0, v40
	v_cmpx_ge_i32_e64 v0, v40
	s_xor_b32 s4, exec_lo, s4
; %bb.8:                                ;   in Loop: Header=BB4_6 Depth=1
	v_mul_lo_u32 v22, v6, s20
; %bb.9:                                ;   in Loop: Header=BB4_6 Depth=1
	s_and_not1_saveexec_b32 s4, s4
	s_cbranch_execz .LBB4_13
; %bb.10:                               ;   in Loop: Header=BB4_6 Depth=1
	v_mad_u32 v4, s49, v6, v0
	v_mad_u32 v10, s51, v6, v0
	s_mov_b32 s6, 0
	s_delay_alu instid0(VALU_DEP_2) | instskip(NEXT) | instid1(VALU_DEP_2)
	v_dual_mov_b32 v7, v0 :: v_dual_ashrrev_i32 v5, 31, v4
	v_lshl_add_u64 v[2:3], v[10:11], 3, s[36:37]
	s_delay_alu instid0(VALU_DEP_2)
	v_lshl_add_u64 v[4:5], v[4:5], 3, s[38:39]
.LBB4_11:                               ;   Parent Loop BB4_6 Depth=1
                                        ; =>  This Inner Loop Header: Depth=2
	global_load_b64 v[20:21], v[4:5], off
	v_add_nc_u32_e32 v7, 0x100, v7
	s_wait_xcnt 0x0
	v_add_nc_u64_e32 v[4:5], 0x800, v[4:5]
	s_delay_alu instid0(VALU_DEP_2)
	v_cmp_ge_i32_e32 vcc_lo, v7, v40
	s_or_b32 s6, vcc_lo, s6
	s_wait_loadcnt 0x0
	global_store_b64 v[2:3], v[20:21], off
	s_wait_xcnt 0x0
	v_add_nc_u64_e32 v[2:3], 0x800, v[2:3]
	s_and_not1_b32 exec_lo, exec_lo, s6
	s_cbranch_execnz .LBB4_11
; %bb.12:                               ;   in Loop: Header=BB4_6 Depth=1
	s_or_b32 exec_lo, exec_lo, s6
.LBB4_13:                               ;   in Loop: Header=BB4_6 Depth=1
	s_delay_alu instid0(SALU_CYCLE_1) | instskip(NEXT) | instid1(VALU_DEP_1)
	s_or_b32 exec_lo, exec_lo, s4
	v_dual_mov_b32 v7, v11 :: v_dual_ashrrev_i32 v23, 31, v22
	s_wait_storecnt_dscnt 0x0
	s_barrier_signal -1
	s_barrier_wait -1
	s_delay_alu instid0(VALU_DEP_1) | instskip(NEXT) | instid1(VALU_DEP_1)
	v_lshl_add_u64 v[24:25], v[6:7], 3, s[22:23]
	v_lshl_add_u64 v[20:21], v[22:23], 3, v[24:25]
	s_and_saveexec_b32 s6, s5
	s_cbranch_execz .LBB4_20
; %bb.14:                               ;   in Loop: Header=BB4_6 Depth=1
	v_lshl_add_u64 v[2:3], v[6:7], 3, v[16:17]
	v_mov_b32_e32 v10, v0
	s_mov_b32 s7, 0
	v_cmp_ne_u32_e32 vcc_lo, 0, v6
	s_branch .LBB4_16
.LBB4_15:                               ;   in Loop: Header=BB4_16 Depth=2
	s_or_b32 exec_lo, exec_lo, s54
	v_lshl_add_u64 v[26:27], v[10:11], 3, v[20:21]
	v_add_nc_u32_e32 v10, 0x100, v10
	v_add_nc_u64_e32 v[2:3], 0x800, v[2:3]
	global_load_b64 v[28:29], v[26:27], off
	v_cmp_ge_i32_e64 s4, v10, v40
	s_or_b32 s7, s4, s7
	s_wait_loadcnt 0x0
	v_add_f64_e64 v[4:5], v[28:29], -v[4:5]
	global_store_b64 v[26:27], v[4:5], off
	s_wait_xcnt 0x0
	s_and_not1_b32 exec_lo, exec_lo, s7
	s_cbranch_execz .LBB4_20
.LBB4_16:                               ;   Parent Loop BB4_6 Depth=1
                                        ; =>  This Loop Header: Depth=2
                                        ;       Child Loop BB4_18 Depth 3
	v_mov_b64_e32 v[4:5], 0
	s_and_saveexec_b32 s54, vcc_lo
	s_cbranch_execz .LBB4_15
; %bb.17:                               ;   in Loop: Header=BB4_16 Depth=2
	v_mov_b64_e32 v[4:5], 0
	v_mov_b64_e32 v[26:27], v[2:3]
	;; [unrolled: 1-line block ×3, first 2 shown]
	v_mov_b32_e32 v30, v6
	s_mov_b32 s55, 0
.LBB4_18:                               ;   Parent Loop BB4_6 Depth=1
                                        ;     Parent Loop BB4_16 Depth=2
                                        ; =>    This Inner Loop Header: Depth=3
	global_load_b64 v[32:33], v[26:27], off
	global_load_b64 v[34:35], v[28:29], off
	v_add_nc_u32_e32 v30, -1, v30
	s_wait_xcnt 0x0
	v_add_nc_u64_e32 v[28:29], s[42:43], v[28:29]
	v_add_nc_u64_e32 v[26:27], s[44:45], v[26:27]
	s_delay_alu instid0(VALU_DEP_3)
	v_cmp_eq_u32_e64 s4, 0, v30
	s_or_b32 s55, s4, s55
	s_wait_loadcnt 0x0
	v_fmac_f64_e32 v[4:5], v[32:33], v[34:35]
	s_and_not1_b32 exec_lo, exec_lo, s55
	s_cbranch_execnz .LBB4_18
; %bb.19:                               ;   in Loop: Header=BB4_16 Depth=2
	s_or_b32 exec_lo, exec_lo, s55
	s_branch .LBB4_15
.LBB4_20:                               ;   in Loop: Header=BB4_6 Depth=1
	s_or_b32 exec_lo, exec_lo, s6
	v_add_nc_u32_e32 v39, -1, v40
	v_mov_b64_e32 v[2:3], 0
	v_bfrev_b32_e32 v10, -2
	s_wait_storecnt 0x0
	s_barrier_signal -1
	v_cmp_lt_i32_e64 s4, v0, v39
	s_barrier_wait -1
	s_and_saveexec_b32 s7, s4
	s_cbranch_execz .LBB4_24
; %bb.21:                               ;   in Loop: Header=BB4_6 Depth=1
	v_lshlrev_b64_e32 v[2:3], 3, v[6:7]
	v_bfrev_b32_e32 v10, -2
	v_mov_b32_e32 v26, v0
	s_mov_b32 s54, 0
	s_delay_alu instid0(VALU_DEP_3) | instskip(NEXT) | instid1(VALU_DEP_1)
	v_lshl_add_u64 v[2:3], v[22:23], 3, v[2:3]
	v_add_nc_u64_e32 v[4:5], v[18:19], v[2:3]
	v_mov_b64_e32 v[2:3], 0
.LBB4_22:                               ;   Parent Loop BB4_6 Depth=1
                                        ; =>  This Inner Loop Header: Depth=2
	global_load_b64 v[28:29], v[4:5], off
	v_cmp_eq_u32_e32 vcc_lo, 0x7fffffff, v10
	s_wait_xcnt 0x0
	v_add_nc_u64_e32 v[4:5], 0x800, v[4:5]
	s_wait_loadcnt 0x0
	v_cmp_lt_f64_e64 s55, v[2:3], |v[28:29]|
	v_and_b32_e32 v29, 0x7fffffff, v29
	s_or_b32 vcc_lo, s55, vcc_lo
	s_delay_alu instid0(VALU_DEP_1) | instid1(SALU_CYCLE_1)
	v_dual_add_nc_u32 v27, 1, v26 :: v_dual_cndmask_b32 v3, v3, v29, vcc_lo
	v_add_nc_u32_e32 v26, 0x100, v26
	v_cndmask_b32_e32 v2, v2, v28, vcc_lo
	s_delay_alu instid0(VALU_DEP_3) | instskip(NEXT) | instid1(VALU_DEP_3)
	v_cndmask_b32_e32 v10, v10, v27, vcc_lo
	v_cmp_ge_i32_e64 s6, v26, v39
	s_or_b32 s54, s6, s54
	s_delay_alu instid0(SALU_CYCLE_1)
	s_and_not1_b32 exec_lo, exec_lo, s54
	s_cbranch_execnz .LBB4_22
; %bb.23:                               ;   in Loop: Header=BB4_6 Depth=1
	s_or_b32 exec_lo, exec_lo, s54
.LBB4_24:                               ;   in Loop: Header=BB4_6 Depth=1
	s_delay_alu instid0(SALU_CYCLE_1) | instskip(NEXT) | instid1(SALU_CYCLE_1)
	s_or_b32 exec_lo, exec_lo, s7
	s_mov_b32 s54, exec_lo
	ds_store_b64 v8, v[2:3]
	ds_store_b32 v36, v10
	s_wait_dscnt 0x0
	s_barrier_signal -1
	s_barrier_wait -1
	v_cmpx_lt_i32_e32 2, v40
	s_cbranch_execz .LBB4_60
; %bb.25:                               ;   in Loop: Header=BB4_6 Depth=1
	s_and_saveexec_b32 s7, s0
	s_cbranch_execz .LBB4_31
; %bb.26:                               ;   in Loop: Header=BB4_6 Depth=1
	ds_load_b64 v[4:5], v8 offset:1024
	ds_load_b32 v26, v36 offset:512
	s_mov_b32 s56, exec_lo
	s_wait_dscnt 0x1
	v_cmp_lt_f64_e64 s55, v[2:3], v[4:5]
	v_cmpx_nlt_f64_e32 v[2:3], v[4:5]
	s_cbranch_execz .LBB4_28
; %bb.27:                               ;   in Loop: Header=BB4_6 Depth=1
	v_cmp_eq_f64_e32 vcc_lo, v[2:3], v[4:5]
	s_wait_dscnt 0x0
	v_cmp_gt_i32_e64 s6, v10, v26
	s_and_not1_b32 s55, s55, exec_lo
	s_and_b32 s6, vcc_lo, s6
	s_delay_alu instid0(SALU_CYCLE_1) | instskip(NEXT) | instid1(SALU_CYCLE_1)
	s_and_b32 s6, s6, exec_lo
	s_or_b32 s55, s55, s6
.LBB4_28:                               ;   in Loop: Header=BB4_6 Depth=1
	s_or_b32 exec_lo, exec_lo, s56
	s_and_saveexec_b32 s6, s55
	s_cbranch_execz .LBB4_30
; %bb.29:                               ;   in Loop: Header=BB4_6 Depth=1
	v_mov_b64_e32 v[2:3], v[4:5]
	s_wait_dscnt 0x0
	v_mov_b32_e32 v10, v26
	ds_store_b64 v8, v[4:5]
	ds_store_b32 v36, v26
.LBB4_30:                               ;   in Loop: Header=BB4_6 Depth=1
	s_or_b32 exec_lo, exec_lo, s6
.LBB4_31:                               ;   in Loop: Header=BB4_6 Depth=1
	s_delay_alu instid0(SALU_CYCLE_1)
	s_or_b32 exec_lo, exec_lo, s7
	s_wait_dscnt 0x0
	s_barrier_signal -1
	s_barrier_wait -1
	s_and_saveexec_b32 s7, s1
	s_cbranch_execz .LBB4_37
; %bb.32:                               ;   in Loop: Header=BB4_6 Depth=1
	ds_load_b64 v[4:5], v8 offset:512
	ds_load_b32 v26, v36 offset:256
	s_mov_b32 s56, exec_lo
	s_wait_dscnt 0x1
	v_cmp_lt_f64_e64 s55, v[2:3], v[4:5]
	v_cmpx_nlt_f64_e32 v[2:3], v[4:5]
	s_cbranch_execz .LBB4_34
; %bb.33:                               ;   in Loop: Header=BB4_6 Depth=1
	v_cmp_eq_f64_e32 vcc_lo, v[2:3], v[4:5]
	s_wait_dscnt 0x0
	v_cmp_gt_i32_e64 s6, v10, v26
	s_and_not1_b32 s55, s55, exec_lo
	s_and_b32 s6, vcc_lo, s6
	s_delay_alu instid0(SALU_CYCLE_1) | instskip(NEXT) | instid1(SALU_CYCLE_1)
	s_and_b32 s6, s6, exec_lo
	s_or_b32 s55, s55, s6
.LBB4_34:                               ;   in Loop: Header=BB4_6 Depth=1
	s_or_b32 exec_lo, exec_lo, s56
	s_and_saveexec_b32 s6, s55
	s_cbranch_execz .LBB4_36
; %bb.35:                               ;   in Loop: Header=BB4_6 Depth=1
	v_mov_b64_e32 v[2:3], v[4:5]
	s_wait_dscnt 0x0
	v_mov_b32_e32 v10, v26
	ds_store_b64 v8, v[4:5]
	ds_store_b32 v36, v26
.LBB4_36:                               ;   in Loop: Header=BB4_6 Depth=1
	s_or_b32 exec_lo, exec_lo, s6
.LBB4_37:                               ;   in Loop: Header=BB4_6 Depth=1
	s_delay_alu instid0(SALU_CYCLE_1)
	s_or_b32 exec_lo, exec_lo, s7
	s_wait_dscnt 0x0
	s_barrier_signal -1
	s_barrier_wait -1
	s_and_b32 exec_lo, exec_lo, s3
	s_cbranch_execz .LBB4_60
; %bb.38:                               ;   in Loop: Header=BB4_6 Depth=1
	ds_load_b64 v[4:5], v8 offset:256
	ds_load_b32 v26, v36 offset:128
	s_mov_b32 s55, exec_lo
	s_wait_dscnt 0x1
	v_cmp_lt_f64_e64 s7, v[2:3], v[4:5]
	v_cmpx_nlt_f64_e32 v[2:3], v[4:5]
	s_cbranch_execz .LBB4_40
; %bb.39:                               ;   in Loop: Header=BB4_6 Depth=1
	v_cmp_eq_f64_e32 vcc_lo, v[2:3], v[4:5]
	s_wait_dscnt 0x0
	v_cmp_gt_i32_e64 s6, v10, v26
	s_and_not1_b32 s7, s7, exec_lo
	s_and_b32 s6, vcc_lo, s6
	s_delay_alu instid0(SALU_CYCLE_1) | instskip(NEXT) | instid1(SALU_CYCLE_1)
	s_and_b32 s6, s6, exec_lo
	s_or_b32 s7, s7, s6
.LBB4_40:                               ;   in Loop: Header=BB4_6 Depth=1
	s_or_b32 exec_lo, exec_lo, s55
	s_and_saveexec_b32 s6, s7
	s_cbranch_execz .LBB4_42
; %bb.41:                               ;   in Loop: Header=BB4_6 Depth=1
	v_mov_b64_e32 v[2:3], v[4:5]
	s_wait_dscnt 0x0
	v_mov_b32_e32 v10, v26
	ds_store_b64 v8, v[4:5]
	ds_store_b32 v36, v26
.LBB4_42:                               ;   in Loop: Header=BB4_6 Depth=1
	s_or_b32 exec_lo, exec_lo, s6
	ds_load_b64 v[4:5], v8 offset:128
	s_wait_dscnt 0x1
	ds_load_b32 v26, v36 offset:64
	s_mov_b32 s55, exec_lo
	s_wait_dscnt 0x1
	v_cmp_lt_f64_e64 s7, v[2:3], v[4:5]
	v_cmpx_nlt_f64_e32 v[2:3], v[4:5]
	s_cbranch_execz .LBB4_44
; %bb.43:                               ;   in Loop: Header=BB4_6 Depth=1
	v_cmp_eq_f64_e32 vcc_lo, v[2:3], v[4:5]
	s_wait_dscnt 0x0
	v_cmp_gt_i32_e64 s6, v10, v26
	s_and_not1_b32 s7, s7, exec_lo
	s_and_b32 s6, vcc_lo, s6
	s_delay_alu instid0(SALU_CYCLE_1) | instskip(NEXT) | instid1(SALU_CYCLE_1)
	s_and_b32 s6, s6, exec_lo
	s_or_b32 s7, s7, s6
.LBB4_44:                               ;   in Loop: Header=BB4_6 Depth=1
	s_or_b32 exec_lo, exec_lo, s55
	s_and_saveexec_b32 s6, s7
	s_cbranch_execz .LBB4_46
; %bb.45:                               ;   in Loop: Header=BB4_6 Depth=1
	v_mov_b64_e32 v[2:3], v[4:5]
	s_wait_dscnt 0x0
	v_mov_b32_e32 v10, v26
	ds_store_b64 v8, v[4:5]
	ds_store_b32 v36, v26
.LBB4_46:                               ;   in Loop: Header=BB4_6 Depth=1
	s_or_b32 exec_lo, exec_lo, s6
	ds_load_b64 v[4:5], v8 offset:64
	s_wait_dscnt 0x1
	ds_load_b32 v26, v36 offset:32
	s_mov_b32 s55, exec_lo
	s_wait_dscnt 0x1
	v_cmp_lt_f64_e64 s7, v[2:3], v[4:5]
	v_cmpx_nlt_f64_e32 v[2:3], v[4:5]
	s_cbranch_execz .LBB4_48
; %bb.47:                               ;   in Loop: Header=BB4_6 Depth=1
	v_cmp_eq_f64_e32 vcc_lo, v[2:3], v[4:5]
	s_wait_dscnt 0x0
	v_cmp_gt_i32_e64 s6, v10, v26
	s_and_not1_b32 s7, s7, exec_lo
	s_and_b32 s6, vcc_lo, s6
	s_delay_alu instid0(SALU_CYCLE_1) | instskip(NEXT) | instid1(SALU_CYCLE_1)
	s_and_b32 s6, s6, exec_lo
	s_or_b32 s7, s7, s6
.LBB4_48:                               ;   in Loop: Header=BB4_6 Depth=1
	s_or_b32 exec_lo, exec_lo, s55
	s_and_saveexec_b32 s6, s7
	s_cbranch_execz .LBB4_50
; %bb.49:                               ;   in Loop: Header=BB4_6 Depth=1
	v_mov_b64_e32 v[2:3], v[4:5]
	s_wait_dscnt 0x0
	v_mov_b32_e32 v10, v26
	ds_store_b64 v8, v[4:5]
	ds_store_b32 v36, v26
.LBB4_50:                               ;   in Loop: Header=BB4_6 Depth=1
	s_or_b32 exec_lo, exec_lo, s6
	ds_load_b64 v[4:5], v8 offset:32
	s_wait_dscnt 0x1
	ds_load_b32 v26, v36 offset:16
	s_mov_b32 s55, exec_lo
	s_wait_dscnt 0x1
	v_cmp_lt_f64_e64 s7, v[2:3], v[4:5]
	v_cmpx_nlt_f64_e32 v[2:3], v[4:5]
	s_cbranch_execz .LBB4_52
; %bb.51:                               ;   in Loop: Header=BB4_6 Depth=1
	v_cmp_eq_f64_e32 vcc_lo, v[2:3], v[4:5]
	s_wait_dscnt 0x0
	v_cmp_gt_i32_e64 s6, v10, v26
	s_and_not1_b32 s7, s7, exec_lo
	s_and_b32 s6, vcc_lo, s6
	s_delay_alu instid0(SALU_CYCLE_1) | instskip(NEXT) | instid1(SALU_CYCLE_1)
	s_and_b32 s6, s6, exec_lo
	s_or_b32 s7, s7, s6
.LBB4_52:                               ;   in Loop: Header=BB4_6 Depth=1
	s_or_b32 exec_lo, exec_lo, s55
	s_and_saveexec_b32 s6, s7
	s_cbranch_execz .LBB4_54
; %bb.53:                               ;   in Loop: Header=BB4_6 Depth=1
	v_mov_b64_e32 v[2:3], v[4:5]
	s_wait_dscnt 0x0
	v_mov_b32_e32 v10, v26
	ds_store_b64 v8, v[4:5]
	ds_store_b32 v36, v26
.LBB4_54:                               ;   in Loop: Header=BB4_6 Depth=1
	s_or_b32 exec_lo, exec_lo, s6
	ds_load_b64 v[4:5], v8 offset:16
	s_wait_dscnt 0x1
	ds_load_b32 v26, v36 offset:8
	s_mov_b32 s55, exec_lo
	s_wait_dscnt 0x1
	v_cmp_lt_f64_e64 s7, v[2:3], v[4:5]
	v_cmpx_nlt_f64_e32 v[2:3], v[4:5]
	s_cbranch_execz .LBB4_56
; %bb.55:                               ;   in Loop: Header=BB4_6 Depth=1
	v_cmp_eq_f64_e32 vcc_lo, v[2:3], v[4:5]
	s_wait_dscnt 0x0
	v_cmp_gt_i32_e64 s6, v10, v26
	s_and_not1_b32 s7, s7, exec_lo
	s_and_b32 s6, vcc_lo, s6
	s_delay_alu instid0(SALU_CYCLE_1) | instskip(NEXT) | instid1(SALU_CYCLE_1)
	s_and_b32 s6, s6, exec_lo
	s_or_b32 s7, s7, s6
.LBB4_56:                               ;   in Loop: Header=BB4_6 Depth=1
	s_or_b32 exec_lo, exec_lo, s55
	s_and_saveexec_b32 s6, s7
	s_cbranch_execz .LBB4_58
; %bb.57:                               ;   in Loop: Header=BB4_6 Depth=1
	v_mov_b64_e32 v[2:3], v[4:5]
	s_wait_dscnt 0x0
	v_mov_b32_e32 v10, v26
	ds_store_b64 v8, v[4:5]
	ds_store_b32 v36, v26
.LBB4_58:                               ;   in Loop: Header=BB4_6 Depth=1
	s_or_b32 exec_lo, exec_lo, s6
	ds_load_b64 v[4:5], v8 offset:8
	s_wait_dscnt 0x1
	ds_load_b32 v26, v36 offset:4
	s_wait_dscnt 0x1
	v_cmp_eq_f64_e32 vcc_lo, v[2:3], v[4:5]
	v_cmp_lt_f64_e64 s6, v[2:3], v[4:5]
	s_wait_dscnt 0x0
	v_cmp_gt_i32_e64 s7, v10, v26
	s_and_b32 s7, vcc_lo, s7
	s_delay_alu instid0(SALU_CYCLE_1) | instskip(NEXT) | instid1(SALU_CYCLE_1)
	s_or_b32 s6, s6, s7
	s_and_b32 exec_lo, exec_lo, s6
	s_cbranch_execz .LBB4_60
; %bb.59:                               ;   in Loop: Header=BB4_6 Depth=1
	ds_store_b64 v8, v[4:5]
	ds_store_b32 v36, v26
.LBB4_60:                               ;   in Loop: Header=BB4_6 Depth=1
	s_or_b32 exec_lo, exec_lo, s54
	s_and_saveexec_b32 s6, s2
	s_cbranch_execz .LBB4_62
; %bb.61:                               ;   in Loop: Header=BB4_6 Depth=1
	global_load_b64 v[2:3], v[20:21], off
	ds_load_b32 v10, v11 offset:2048
	ds_load_b64 v[4:5], v11
	s_wait_dscnt 0x1
	v_add_nc_u32_e32 v10, v10, v6
	s_wait_loadcnt 0x0
	v_and_b32_e32 v3, 0x7fffffff, v3
	ds_store_b32 v11, v10 offset:3096
	s_wait_dscnt 0x1
	ds_store_b128 v11, v[2:5] offset:3072
.LBB4_62:                               ;   in Loop: Header=BB4_6 Depth=1
	s_or_b32 exec_lo, exec_lo, s6
	s_wait_dscnt 0x0
	s_barrier_signal -1
	s_barrier_wait -1
	ds_load_b128 v[2:5], v11 offset:3072
	v_add_nc_u32_e32 v41, 1, v6
	s_wait_dscnt 0x0
	v_cmp_lt_f64_e32 vcc_lo, v[2:3], v[4:5]
	v_dual_cndmask_b32 v27, v3, v5 :: v_dual_cndmask_b32 v26, v2, v4
	s_delay_alu instid0(VALU_DEP_1)
	v_cmp_neq_f64_e32 vcc_lo, 0, v[26:27]
	s_cbranch_vccz .LBB4_80
; %bb.63:                               ;   in Loop: Header=BB4_6 Depth=1
	v_mul_f64_e32 v[4:5], 0x3fe47e0f66afed07, v[4:5]
	s_delay_alu instid0(VALU_DEP_1)
	v_cmp_ge_f64_e32 vcc_lo, v[2:3], v[4:5]
	s_cbranch_vccnz .LBB4_175
; %bb.64:                               ;   in Loop: Header=BB4_6 Depth=1
	ds_load_b32 v4, v11 offset:3096
	s_mov_b32 s6, exec_lo
	s_wait_dscnt 0x0
	v_sub_nc_u32_e32 v5, v4, v6
	s_delay_alu instid0(VALU_DEP_1)
	v_cmpx_lt_i32_e64 v0, v5
	s_cbranch_execz .LBB4_67
; %bb.65:                               ;   in Loop: Header=BB4_6 Depth=1
	v_add_nc_u32_e32 v2, v0, v6
	s_mov_b32 s7, 0
	s_delay_alu instid0(VALU_DEP_1) | instskip(SKIP_1) | instid1(VALU_DEP_2)
	v_mad_u32 v10, v41, s20, v2
	v_mad_u32 v26, s19, v2, v4
	v_lshl_add_u64 v[2:3], v[10:11], 3, s[36:37]
	v_mov_b32_e32 v10, v0
.LBB4_66:                               ;   Parent Loop BB4_6 Depth=1
                                        ; =>  This Inner Loop Header: Depth=2
	global_load_b64 v[28:29], v26, s[8:9] scale_offset
	v_add_nc_u32_e32 v10, 0x100, v10
	s_wait_xcnt 0x0
	v_add_nc_u32_e32 v26, s40, v26
	s_delay_alu instid0(VALU_DEP_2)
	v_cmp_ge_i32_e32 vcc_lo, v10, v5
	s_or_b32 s7, vcc_lo, s7
	s_wait_loadcnt 0x0
	global_store_b64 v[2:3], v[28:29], off
	s_wait_xcnt 0x0
	v_add_nc_u64_e32 v[2:3], 0x800, v[2:3]
	s_and_not1_b32 exec_lo, exec_lo, s7
	s_cbranch_execnz .LBB4_66
.LBB4_67:                               ;   in Loop: Header=BB4_6 Depth=1
	s_or_b32 exec_lo, exec_lo, s6
	v_sub_nc_u32_e32 v3, s20, v4
	s_mov_b32 s6, exec_lo
                                        ; implicit-def: $vgpr2
	s_delay_alu instid0(VALU_DEP_1)
	v_cmpx_ge_i32_e64 v0, v3
	s_xor_b32 s6, exec_lo, s6
; %bb.68:                               ;   in Loop: Header=BB4_6 Depth=1
	v_mul_lo_u32 v2, v41, s20
                                        ; implicit-def: $vgpr3
                                        ; implicit-def: $vgpr4
; %bb.69:                               ;   in Loop: Header=BB4_6 Depth=1
	s_and_not1_saveexec_b32 s6, s6
	s_cbranch_execz .LBB4_73
; %bb.70:                               ;   in Loop: Header=BB4_6 Depth=1
	v_mul_lo_u32 v2, v41, s20
	v_mad_u32 v26, s49, v4, v0
	v_mov_b32_e32 v10, v0
	s_mov_b32 s7, 0
	s_delay_alu instid0(VALU_DEP_3) | instskip(NEXT) | instid1(VALU_DEP_1)
	v_add3_u32 v28, v0, v4, v2
	v_dual_ashrrev_i32 v27, 31, v26 :: v_dual_ashrrev_i32 v29, 31, v28
	s_delay_alu instid0(VALU_DEP_1) | instskip(NEXT) | instid1(VALU_DEP_2)
	v_lshl_add_u64 v[4:5], v[26:27], 3, s[38:39]
	v_lshl_add_u64 v[26:27], v[28:29], 3, s[36:37]
.LBB4_71:                               ;   Parent Loop BB4_6 Depth=1
                                        ; =>  This Inner Loop Header: Depth=2
	global_load_b64 v[28:29], v[4:5], off
	v_add_nc_u32_e32 v10, 0x100, v10
	s_wait_xcnt 0x0
	v_add_nc_u64_e32 v[4:5], 0x800, v[4:5]
	s_delay_alu instid0(VALU_DEP_2)
	v_cmp_ge_i32_e32 vcc_lo, v10, v3
	s_or_b32 s7, vcc_lo, s7
	s_wait_loadcnt 0x0
	global_store_b64 v[26:27], v[28:29], off
	s_wait_xcnt 0x0
	v_add_nc_u64_e32 v[26:27], 0x800, v[26:27]
	s_and_not1_b32 exec_lo, exec_lo, s7
	s_cbranch_execnz .LBB4_71
; %bb.72:                               ;   in Loop: Header=BB4_6 Depth=1
	s_or_b32 exec_lo, exec_lo, s7
.LBB4_73:                               ;   in Loop: Header=BB4_6 Depth=1
	s_delay_alu instid0(SALU_CYCLE_1) | instskip(NEXT) | instid1(VALU_DEP_1)
	s_or_b32 exec_lo, exec_lo, s6
	v_ashrrev_i32_e32 v3, 31, v2
	s_wait_storecnt 0x0
	s_barrier_signal -1
	s_barrier_wait -1
	s_and_saveexec_b32 s7, s5
	s_cbranch_execz .LBB4_81
; %bb.74:                               ;   in Loop: Header=BB4_6 Depth=1
	ds_load_b32 v4, v11 offset:3096
	v_lshl_add_u64 v[28:29], v[6:7], 3, v[16:17]
	s_mov_b32 s54, 0
	v_cmp_ne_u32_e32 vcc_lo, 0, v6
	s_wait_dscnt 0x0
	v_dual_mov_b32 v10, v0 :: v_dual_ashrrev_i32 v5, 31, v4
	s_delay_alu instid0(VALU_DEP_1) | instskip(SKIP_1) | instid1(VALU_DEP_2)
	v_lshlrev_b64_e32 v[26:27], 3, v[4:5]
	v_lshl_add_u64 v[4:5], v[2:3], 3, v[24:25]
	v_add_nc_u64_e32 v[26:27], s[22:23], v[26:27]
	s_branch .LBB4_76
.LBB4_75:                               ;   in Loop: Header=BB4_76 Depth=2
	s_or_b32 exec_lo, exec_lo, s55
	v_lshl_add_u64 v[32:33], v[10:11], 3, v[4:5]
	v_add_nc_u32_e32 v10, 0x100, v10
	v_add_nc_u64_e32 v[28:29], 0x800, v[28:29]
	global_load_b64 v[34:35], v[32:33], off
	v_cmp_ge_i32_e64 s6, v10, v40
	s_or_b32 s54, s6, s54
	s_wait_loadcnt 0x0
	v_add_f64_e64 v[30:31], v[34:35], -v[30:31]
	global_store_b64 v[32:33], v[30:31], off
	s_wait_xcnt 0x0
	s_and_not1_b32 exec_lo, exec_lo, s54
	s_cbranch_execz .LBB4_81
.LBB4_76:                               ;   Parent Loop BB4_6 Depth=1
                                        ; =>  This Loop Header: Depth=2
                                        ;       Child Loop BB4_78 Depth 3
	v_mov_b64_e32 v[30:31], 0
	s_and_saveexec_b32 s55, vcc_lo
	s_cbranch_execz .LBB4_75
; %bb.77:                               ;   in Loop: Header=BB4_76 Depth=2
	v_mov_b64_e32 v[30:31], 0
	v_mov_b64_e32 v[32:33], v[28:29]
	;; [unrolled: 1-line block ×3, first 2 shown]
	v_mov_b32_e32 v42, v6
	s_mov_b32 s56, 0
.LBB4_78:                               ;   Parent Loop BB4_6 Depth=1
                                        ;     Parent Loop BB4_76 Depth=2
                                        ; =>    This Inner Loop Header: Depth=3
	global_load_b64 v[44:45], v[32:33], off
	global_load_b64 v[46:47], v[34:35], off
	v_add_nc_u32_e32 v42, -1, v42
	s_wait_xcnt 0x0
	v_add_nc_u64_e32 v[34:35], s[42:43], v[34:35]
	v_add_nc_u64_e32 v[32:33], s[44:45], v[32:33]
	s_delay_alu instid0(VALU_DEP_3)
	v_cmp_eq_u32_e64 s6, 0, v42
	s_or_b32 s56, s6, s56
	s_wait_loadcnt 0x0
	v_fmac_f64_e32 v[30:31], v[44:45], v[46:47]
	s_and_not1_b32 exec_lo, exec_lo, s56
	s_cbranch_execnz .LBB4_78
; %bb.79:                               ;   in Loop: Header=BB4_76 Depth=2
	s_or_b32 exec_lo, exec_lo, s56
	s_branch .LBB4_75
.LBB4_80:                               ;   in Loop: Header=BB4_6 Depth=1
                                        ; implicit-def: $sgpr7
                                        ; implicit-def: $vgpr30
                                        ; implicit-def: $vgpr4
	s_cbranch_execnz .LBB4_208
	s_branch .LBB4_211
.LBB4_81:                               ;   in Loop: Header=BB4_6 Depth=1
	s_or_b32 exec_lo, exec_lo, s7
	s_wait_storecnt 0x0
	s_barrier_signal -1
	s_barrier_wait -1
	ds_load_b32 v4, v11 offset:3096
	v_bfrev_b32_e32 v10, -2
	s_mov_b32 s7, exec_lo
	s_wait_dscnt 0x0
	v_sub_nc_u32_e32 v28, v4, v6
	v_mov_b64_e32 v[4:5], 0
	s_delay_alu instid0(VALU_DEP_2)
	v_cmpx_lt_i32_e64 v0, v28
	s_cbranch_execz .LBB4_85
; %bb.82:                               ;   in Loop: Header=BB4_6 Depth=1
	v_lshlrev_b64_e32 v[4:5], 3, v[6:7]
	v_bfrev_b32_e32 v10, -2
	v_mov_b32_e32 v29, v0
	s_mov_b32 s54, 0
	s_delay_alu instid0(VALU_DEP_3) | instskip(NEXT) | instid1(VALU_DEP_1)
	v_lshl_add_u64 v[4:5], v[2:3], 3, v[4:5]
	v_add_nc_u64_e32 v[26:27], v[14:15], v[4:5]
	v_mov_b64_e32 v[4:5], 0
.LBB4_83:                               ;   Parent Loop BB4_6 Depth=1
                                        ; =>  This Inner Loop Header: Depth=2
	global_load_b64 v[30:31], v[26:27], off
	v_cmp_eq_u32_e32 vcc_lo, 0x7fffffff, v10
	s_wait_xcnt 0x0
	v_add_nc_u64_e32 v[26:27], 0x800, v[26:27]
	s_wait_loadcnt 0x0
	v_cmp_lt_f64_e64 s55, v[4:5], |v[30:31]|
	v_and_b32_e32 v31, 0x7fffffff, v31
	s_or_b32 vcc_lo, s55, vcc_lo
	s_delay_alu instid0(VALU_DEP_1) | instskip(SKIP_1) | instid1(VALU_DEP_2)
	v_dual_cndmask_b32 v5, v5, v31 :: v_dual_add_nc_u32 v32, 1, v29
	v_dual_cndmask_b32 v4, v4, v30 :: v_dual_add_nc_u32 v29, 0x100, v29
	v_cndmask_b32_e32 v10, v10, v32, vcc_lo
	s_delay_alu instid0(VALU_DEP_2) | instskip(SKIP_1) | instid1(SALU_CYCLE_1)
	v_cmp_ge_i32_e64 s6, v29, v28
	s_or_b32 s54, s6, s54
	s_and_not1_b32 exec_lo, exec_lo, s54
	s_cbranch_execnz .LBB4_83
; %bb.84:                               ;   in Loop: Header=BB4_6 Depth=1
	s_or_b32 exec_lo, exec_lo, s54
.LBB4_85:                               ;   in Loop: Header=BB4_6 Depth=1
	s_delay_alu instid0(SALU_CYCLE_1) | instskip(NEXT) | instid1(SALU_CYCLE_1)
	s_or_b32 exec_lo, exec_lo, s7
	s_mov_b32 s54, exec_lo
	ds_store_b64 v8, v[4:5]
	ds_store_b32 v36, v10
	s_wait_dscnt 0x0
	s_barrier_signal -1
	s_barrier_wait -1
	v_cmpx_lt_i32_e32 1, v28
	s_cbranch_execz .LBB4_121
; %bb.86:                               ;   in Loop: Header=BB4_6 Depth=1
	s_and_saveexec_b32 s7, s0
	s_cbranch_execz .LBB4_92
; %bb.87:                               ;   in Loop: Header=BB4_6 Depth=1
	ds_load_b64 v[26:27], v8 offset:1024
	ds_load_b32 v28, v36 offset:512
	s_mov_b32 s56, exec_lo
	s_wait_dscnt 0x1
	v_cmp_lt_f64_e64 s55, v[4:5], v[26:27]
	v_cmpx_nlt_f64_e32 v[4:5], v[26:27]
	s_cbranch_execz .LBB4_89
; %bb.88:                               ;   in Loop: Header=BB4_6 Depth=1
	v_cmp_eq_f64_e32 vcc_lo, v[4:5], v[26:27]
	s_wait_dscnt 0x0
	v_cmp_gt_i32_e64 s6, v10, v28
	s_and_not1_b32 s55, s55, exec_lo
	s_and_b32 s6, vcc_lo, s6
	s_delay_alu instid0(SALU_CYCLE_1) | instskip(NEXT) | instid1(SALU_CYCLE_1)
	s_and_b32 s6, s6, exec_lo
	s_or_b32 s55, s55, s6
.LBB4_89:                               ;   in Loop: Header=BB4_6 Depth=1
	s_or_b32 exec_lo, exec_lo, s56
	s_and_saveexec_b32 s6, s55
	s_cbranch_execz .LBB4_91
; %bb.90:                               ;   in Loop: Header=BB4_6 Depth=1
	v_mov_b64_e32 v[4:5], v[26:27]
	s_wait_dscnt 0x0
	v_mov_b32_e32 v10, v28
	ds_store_b64 v8, v[26:27]
	ds_store_b32 v36, v28
.LBB4_91:                               ;   in Loop: Header=BB4_6 Depth=1
	s_or_b32 exec_lo, exec_lo, s6
.LBB4_92:                               ;   in Loop: Header=BB4_6 Depth=1
	s_delay_alu instid0(SALU_CYCLE_1)
	s_or_b32 exec_lo, exec_lo, s7
	s_wait_dscnt 0x0
	s_barrier_signal -1
	s_barrier_wait -1
	s_and_saveexec_b32 s7, s1
	s_cbranch_execz .LBB4_98
; %bb.93:                               ;   in Loop: Header=BB4_6 Depth=1
	ds_load_b64 v[26:27], v8 offset:512
	ds_load_b32 v28, v36 offset:256
	s_mov_b32 s56, exec_lo
	s_wait_dscnt 0x1
	v_cmp_lt_f64_e64 s55, v[4:5], v[26:27]
	v_cmpx_nlt_f64_e32 v[4:5], v[26:27]
	s_cbranch_execz .LBB4_95
; %bb.94:                               ;   in Loop: Header=BB4_6 Depth=1
	v_cmp_eq_f64_e32 vcc_lo, v[4:5], v[26:27]
	s_wait_dscnt 0x0
	v_cmp_gt_i32_e64 s6, v10, v28
	s_and_not1_b32 s55, s55, exec_lo
	s_and_b32 s6, vcc_lo, s6
	s_delay_alu instid0(SALU_CYCLE_1) | instskip(NEXT) | instid1(SALU_CYCLE_1)
	s_and_b32 s6, s6, exec_lo
	s_or_b32 s55, s55, s6
.LBB4_95:                               ;   in Loop: Header=BB4_6 Depth=1
	s_or_b32 exec_lo, exec_lo, s56
	s_and_saveexec_b32 s6, s55
	s_cbranch_execz .LBB4_97
; %bb.96:                               ;   in Loop: Header=BB4_6 Depth=1
	v_mov_b64_e32 v[4:5], v[26:27]
	s_wait_dscnt 0x0
	v_mov_b32_e32 v10, v28
	ds_store_b64 v8, v[26:27]
	ds_store_b32 v36, v28
.LBB4_97:                               ;   in Loop: Header=BB4_6 Depth=1
	s_or_b32 exec_lo, exec_lo, s6
.LBB4_98:                               ;   in Loop: Header=BB4_6 Depth=1
	s_delay_alu instid0(SALU_CYCLE_1)
	s_or_b32 exec_lo, exec_lo, s7
	s_wait_dscnt 0x0
	s_barrier_signal -1
	s_barrier_wait -1
	s_and_b32 exec_lo, exec_lo, s3
	s_cbranch_execz .LBB4_121
; %bb.99:                               ;   in Loop: Header=BB4_6 Depth=1
	ds_load_b64 v[26:27], v8 offset:256
	ds_load_b32 v28, v36 offset:128
	s_mov_b32 s55, exec_lo
	s_wait_dscnt 0x1
	v_cmp_lt_f64_e64 s7, v[4:5], v[26:27]
	v_cmpx_nlt_f64_e32 v[4:5], v[26:27]
	s_cbranch_execz .LBB4_101
; %bb.100:                              ;   in Loop: Header=BB4_6 Depth=1
	v_cmp_eq_f64_e32 vcc_lo, v[4:5], v[26:27]
	s_wait_dscnt 0x0
	v_cmp_gt_i32_e64 s6, v10, v28
	s_and_not1_b32 s7, s7, exec_lo
	s_and_b32 s6, vcc_lo, s6
	s_delay_alu instid0(SALU_CYCLE_1) | instskip(NEXT) | instid1(SALU_CYCLE_1)
	s_and_b32 s6, s6, exec_lo
	s_or_b32 s7, s7, s6
.LBB4_101:                              ;   in Loop: Header=BB4_6 Depth=1
	s_or_b32 exec_lo, exec_lo, s55
	s_and_saveexec_b32 s6, s7
	s_cbranch_execz .LBB4_103
; %bb.102:                              ;   in Loop: Header=BB4_6 Depth=1
	v_mov_b64_e32 v[4:5], v[26:27]
	s_wait_dscnt 0x0
	v_mov_b32_e32 v10, v28
	ds_store_b64 v8, v[26:27]
	ds_store_b32 v36, v28
.LBB4_103:                              ;   in Loop: Header=BB4_6 Depth=1
	s_or_b32 exec_lo, exec_lo, s6
	ds_load_b64 v[26:27], v8 offset:128
	s_wait_dscnt 0x1
	ds_load_b32 v28, v36 offset:64
	s_mov_b32 s55, exec_lo
	s_wait_dscnt 0x1
	v_cmp_lt_f64_e64 s7, v[4:5], v[26:27]
	v_cmpx_nlt_f64_e32 v[4:5], v[26:27]
	s_cbranch_execz .LBB4_105
; %bb.104:                              ;   in Loop: Header=BB4_6 Depth=1
	v_cmp_eq_f64_e32 vcc_lo, v[4:5], v[26:27]
	s_wait_dscnt 0x0
	v_cmp_gt_i32_e64 s6, v10, v28
	s_and_not1_b32 s7, s7, exec_lo
	s_and_b32 s6, vcc_lo, s6
	s_delay_alu instid0(SALU_CYCLE_1) | instskip(NEXT) | instid1(SALU_CYCLE_1)
	s_and_b32 s6, s6, exec_lo
	s_or_b32 s7, s7, s6
.LBB4_105:                              ;   in Loop: Header=BB4_6 Depth=1
	s_or_b32 exec_lo, exec_lo, s55
	s_and_saveexec_b32 s6, s7
	s_cbranch_execz .LBB4_107
; %bb.106:                              ;   in Loop: Header=BB4_6 Depth=1
	v_mov_b64_e32 v[4:5], v[26:27]
	s_wait_dscnt 0x0
	v_mov_b32_e32 v10, v28
	ds_store_b64 v8, v[26:27]
	ds_store_b32 v36, v28
.LBB4_107:                              ;   in Loop: Header=BB4_6 Depth=1
	s_or_b32 exec_lo, exec_lo, s6
	ds_load_b64 v[26:27], v8 offset:64
	s_wait_dscnt 0x1
	;; [unrolled: 29-line block ×5, first 2 shown]
	ds_load_b32 v28, v36 offset:4
	s_wait_dscnt 0x1
	v_cmp_eq_f64_e32 vcc_lo, v[4:5], v[26:27]
	v_cmp_lt_f64_e64 s6, v[4:5], v[26:27]
	s_wait_dscnt 0x0
	v_cmp_gt_i32_e64 s7, v10, v28
	s_and_b32 s7, vcc_lo, s7
	s_delay_alu instid0(SALU_CYCLE_1) | instskip(NEXT) | instid1(SALU_CYCLE_1)
	s_or_b32 s6, s6, s7
	s_and_b32 exec_lo, exec_lo, s6
	s_cbranch_execz .LBB4_121
; %bb.120:                              ;   in Loop: Header=BB4_6 Depth=1
	ds_store_b64 v8, v[26:27]
	ds_store_b32 v36, v28
.LBB4_121:                              ;   in Loop: Header=BB4_6 Depth=1
	s_or_b32 exec_lo, exec_lo, s54
	s_and_saveexec_b32 s6, s2
	s_cbranch_execz .LBB4_123
; %bb.122:                              ;   in Loop: Header=BB4_6 Depth=1
	ds_load_b64 v[4:5], v11
	s_wait_dscnt 0x0
	ds_store_b64 v11, v[4:5] offset:3088
.LBB4_123:                              ;   in Loop: Header=BB4_6 Depth=1
	s_or_b32 exec_lo, exec_lo, s6
	ds_load_b32 v4, v11 offset:3096
	s_wait_dscnt 0x0
	v_cmp_le_i32_e32 vcc_lo, s48, v4
	v_readfirstlane_b32 s6, v4
	s_cbranch_vccnz .LBB4_168
; %bb.124:                              ;   in Loop: Header=BB4_6 Depth=1
	v_mov_b64_e32 v[4:5], 0
	v_bfrev_b32_e32 v10, -2
	s_not_b32 s7, s6
	s_mov_b32 s55, exec_lo
	s_add_co_i32 s54, s20, s7
	s_delay_alu instid0(SALU_CYCLE_1)
	v_cmpx_gt_i32_e64 s54, v0
	s_cbranch_execz .LBB4_128
; %bb.125:                              ;   in Loop: Header=BB4_6 Depth=1
	v_lshlrev_b64_e32 v[4:5], 3, v[2:3]
	s_ashr_i32 s7, s6, 31
	v_bfrev_b32_e32 v10, -2
	v_mov_b32_e32 v3, v0
	s_delay_alu instid0(VALU_DEP_3) | instskip(SKIP_1) | instid1(VALU_DEP_1)
	v_lshl_add_u64 v[4:5], s[6:7], 3, v[4:5]
	s_mov_b32 s7, 0
	v_add_nc_u64_e32 v[26:27], v[18:19], v[4:5]
	v_mov_b64_e32 v[4:5], 0
.LBB4_126:                              ;   Parent Loop BB4_6 Depth=1
                                        ; =>  This Inner Loop Header: Depth=2
	global_load_b64 v[28:29], v[26:27], off
	v_cmp_eq_u32_e32 vcc_lo, 0x7fffffff, v10
	s_wait_xcnt 0x0
	v_add_nc_u64_e32 v[26:27], 0x800, v[26:27]
	s_wait_loadcnt 0x0
	v_cmp_lt_f64_e64 s56, v[4:5], |v[28:29]|
	v_and_b32_e32 v29, 0x7fffffff, v29
	s_or_b32 vcc_lo, s56, vcc_lo
	s_delay_alu instid0(VALU_DEP_1) | instskip(SKIP_1) | instid1(VALU_DEP_2)
	v_dual_cndmask_b32 v5, v5, v29 :: v_dual_add_nc_u32 v30, 1, v3
	v_dual_cndmask_b32 v4, v4, v28 :: v_dual_add_nc_u32 v3, 0x100, v3
	v_cndmask_b32_e32 v10, v10, v30, vcc_lo
	s_delay_alu instid0(VALU_DEP_2) | instskip(SKIP_1) | instid1(SALU_CYCLE_1)
	v_cmp_le_i32_e64 s6, s54, v3
	s_or_b32 s7, s6, s7
	s_and_not1_b32 exec_lo, exec_lo, s7
	s_cbranch_execnz .LBB4_126
; %bb.127:                              ;   in Loop: Header=BB4_6 Depth=1
	s_or_b32 exec_lo, exec_lo, s7
.LBB4_128:                              ;   in Loop: Header=BB4_6 Depth=1
	s_delay_alu instid0(SALU_CYCLE_1)
	s_or_b32 exec_lo, exec_lo, s55
	s_cmp_lt_i32 s54, 2
	ds_store_b64 v8, v[4:5]
	ds_store_b32 v36, v10
	s_wait_dscnt 0x0
	s_barrier_signal -1
	s_barrier_wait -1
	s_cbranch_scc1 .LBB4_165
; %bb.129:                              ;   in Loop: Header=BB4_6 Depth=1
	s_and_saveexec_b32 s7, s0
	s_cbranch_execz .LBB4_135
; %bb.130:                              ;   in Loop: Header=BB4_6 Depth=1
	ds_load_b64 v[26:27], v8 offset:1024
	ds_load_b32 v3, v36 offset:512
	s_mov_b32 s55, exec_lo
	s_wait_dscnt 0x1
	v_cmp_lt_f64_e64 s54, v[4:5], v[26:27]
	v_cmpx_nlt_f64_e32 v[4:5], v[26:27]
	s_cbranch_execz .LBB4_132
; %bb.131:                              ;   in Loop: Header=BB4_6 Depth=1
	v_cmp_eq_f64_e32 vcc_lo, v[4:5], v[26:27]
	s_wait_dscnt 0x0
	v_cmp_gt_i32_e64 s6, v10, v3
	s_and_not1_b32 s54, s54, exec_lo
	s_and_b32 s6, vcc_lo, s6
	s_delay_alu instid0(SALU_CYCLE_1) | instskip(NEXT) | instid1(SALU_CYCLE_1)
	s_and_b32 s6, s6, exec_lo
	s_or_b32 s54, s54, s6
.LBB4_132:                              ;   in Loop: Header=BB4_6 Depth=1
	s_or_b32 exec_lo, exec_lo, s55
	s_and_saveexec_b32 s6, s54
	s_cbranch_execz .LBB4_134
; %bb.133:                              ;   in Loop: Header=BB4_6 Depth=1
	v_mov_b64_e32 v[4:5], v[26:27]
	s_wait_dscnt 0x0
	v_mov_b32_e32 v10, v3
	ds_store_b64 v8, v[26:27]
	ds_store_b32 v36, v3
.LBB4_134:                              ;   in Loop: Header=BB4_6 Depth=1
	s_or_b32 exec_lo, exec_lo, s6
.LBB4_135:                              ;   in Loop: Header=BB4_6 Depth=1
	s_delay_alu instid0(SALU_CYCLE_1)
	s_or_b32 exec_lo, exec_lo, s7
	s_wait_dscnt 0x0
	s_barrier_signal -1
	s_barrier_wait -1
	s_and_saveexec_b32 s7, s1
	s_cbranch_execz .LBB4_141
; %bb.136:                              ;   in Loop: Header=BB4_6 Depth=1
	ds_load_b64 v[26:27], v8 offset:512
	ds_load_b32 v3, v36 offset:256
	s_mov_b32 s55, exec_lo
	s_wait_dscnt 0x1
	v_cmp_lt_f64_e64 s54, v[4:5], v[26:27]
	v_cmpx_nlt_f64_e32 v[4:5], v[26:27]
	s_cbranch_execz .LBB4_138
; %bb.137:                              ;   in Loop: Header=BB4_6 Depth=1
	v_cmp_eq_f64_e32 vcc_lo, v[4:5], v[26:27]
	s_wait_dscnt 0x0
	v_cmp_gt_i32_e64 s6, v10, v3
	s_and_not1_b32 s54, s54, exec_lo
	s_and_b32 s6, vcc_lo, s6
	s_delay_alu instid0(SALU_CYCLE_1) | instskip(NEXT) | instid1(SALU_CYCLE_1)
	s_and_b32 s6, s6, exec_lo
	s_or_b32 s54, s54, s6
.LBB4_138:                              ;   in Loop: Header=BB4_6 Depth=1
	s_or_b32 exec_lo, exec_lo, s55
	s_and_saveexec_b32 s6, s54
	s_cbranch_execz .LBB4_140
; %bb.139:                              ;   in Loop: Header=BB4_6 Depth=1
	v_mov_b64_e32 v[4:5], v[26:27]
	s_wait_dscnt 0x0
	v_mov_b32_e32 v10, v3
	ds_store_b64 v8, v[26:27]
	ds_store_b32 v36, v3
.LBB4_140:                              ;   in Loop: Header=BB4_6 Depth=1
	s_or_b32 exec_lo, exec_lo, s6
.LBB4_141:                              ;   in Loop: Header=BB4_6 Depth=1
	s_delay_alu instid0(SALU_CYCLE_1)
	s_or_b32 exec_lo, exec_lo, s7
	s_wait_dscnt 0x0
	s_barrier_signal -1
	s_barrier_wait -1
	s_and_saveexec_b32 s54, s3
	s_cbranch_execz .LBB4_164
; %bb.142:                              ;   in Loop: Header=BB4_6 Depth=1
	ds_load_b64 v[26:27], v8 offset:256
	ds_load_b32 v3, v36 offset:128
	s_mov_b32 s55, exec_lo
	s_wait_dscnt 0x1
	v_cmp_lt_f64_e64 s7, v[4:5], v[26:27]
	v_cmpx_nlt_f64_e32 v[4:5], v[26:27]
	s_cbranch_execz .LBB4_144
; %bb.143:                              ;   in Loop: Header=BB4_6 Depth=1
	v_cmp_eq_f64_e32 vcc_lo, v[4:5], v[26:27]
	s_wait_dscnt 0x0
	v_cmp_gt_i32_e64 s6, v10, v3
	s_and_not1_b32 s7, s7, exec_lo
	s_and_b32 s6, vcc_lo, s6
	s_delay_alu instid0(SALU_CYCLE_1) | instskip(NEXT) | instid1(SALU_CYCLE_1)
	s_and_b32 s6, s6, exec_lo
	s_or_b32 s7, s7, s6
.LBB4_144:                              ;   in Loop: Header=BB4_6 Depth=1
	s_or_b32 exec_lo, exec_lo, s55
	s_and_saveexec_b32 s6, s7
	s_cbranch_execz .LBB4_146
; %bb.145:                              ;   in Loop: Header=BB4_6 Depth=1
	v_mov_b64_e32 v[4:5], v[26:27]
	s_wait_dscnt 0x0
	v_mov_b32_e32 v10, v3
	ds_store_b64 v8, v[26:27]
	ds_store_b32 v36, v3
.LBB4_146:                              ;   in Loop: Header=BB4_6 Depth=1
	s_or_b32 exec_lo, exec_lo, s6
	ds_load_b64 v[26:27], v8 offset:128
	s_wait_dscnt 0x1
	ds_load_b32 v3, v36 offset:64
	s_mov_b32 s55, exec_lo
	s_wait_dscnt 0x1
	v_cmp_lt_f64_e64 s7, v[4:5], v[26:27]
	v_cmpx_nlt_f64_e32 v[4:5], v[26:27]
	s_cbranch_execz .LBB4_148
; %bb.147:                              ;   in Loop: Header=BB4_6 Depth=1
	v_cmp_eq_f64_e32 vcc_lo, v[4:5], v[26:27]
	s_wait_dscnt 0x0
	v_cmp_gt_i32_e64 s6, v10, v3
	s_and_not1_b32 s7, s7, exec_lo
	s_and_b32 s6, vcc_lo, s6
	s_delay_alu instid0(SALU_CYCLE_1) | instskip(NEXT) | instid1(SALU_CYCLE_1)
	s_and_b32 s6, s6, exec_lo
	s_or_b32 s7, s7, s6
.LBB4_148:                              ;   in Loop: Header=BB4_6 Depth=1
	s_or_b32 exec_lo, exec_lo, s55
	s_and_saveexec_b32 s6, s7
	s_cbranch_execz .LBB4_150
; %bb.149:                              ;   in Loop: Header=BB4_6 Depth=1
	v_mov_b64_e32 v[4:5], v[26:27]
	s_wait_dscnt 0x0
	v_mov_b32_e32 v10, v3
	ds_store_b64 v8, v[26:27]
	ds_store_b32 v36, v3
.LBB4_150:                              ;   in Loop: Header=BB4_6 Depth=1
	s_or_b32 exec_lo, exec_lo, s6
	ds_load_b64 v[26:27], v8 offset:64
	s_wait_dscnt 0x1
	;; [unrolled: 29-line block ×5, first 2 shown]
	ds_load_b32 v3, v36 offset:4
	s_wait_dscnt 0x1
	v_cmp_eq_f64_e32 vcc_lo, v[4:5], v[26:27]
	v_cmp_lt_f64_e64 s6, v[4:5], v[26:27]
	s_wait_dscnt 0x0
	v_cmp_gt_i32_e64 s7, v10, v3
	s_and_b32 s7, vcc_lo, s7
	s_delay_alu instid0(SALU_CYCLE_1) | instskip(NEXT) | instid1(SALU_CYCLE_1)
	s_or_b32 s6, s6, s7
	s_and_b32 exec_lo, exec_lo, s6
	s_cbranch_execz .LBB4_164
; %bb.163:                              ;   in Loop: Header=BB4_6 Depth=1
	ds_store_b64 v8, v[26:27]
	ds_store_b32 v36, v3
.LBB4_164:                              ;   in Loop: Header=BB4_6 Depth=1
	s_or_b32 exec_lo, exec_lo, s54
.LBB4_165:                              ;   in Loop: Header=BB4_6 Depth=1
	s_and_saveexec_b32 s6, s2
	s_cbranch_execz .LBB4_167
; %bb.166:                              ;   in Loop: Header=BB4_6 Depth=1
	ds_load_b64 v[4:5], v11 offset:3088
	ds_load_b64 v[26:27], v11
	s_wait_dscnt 0x0
	v_cmp_lt_f64_e32 vcc_lo, v[4:5], v[26:27]
	v_dual_cndmask_b32 v5, v5, v27 :: v_dual_cndmask_b32 v4, v4, v26
	ds_store_b64 v11, v[4:5] offset:3088
.LBB4_167:                              ;   in Loop: Header=BB4_6 Depth=1
	s_or_b32 exec_lo, exec_lo, s6
.LBB4_168:                              ;   in Loop: Header=BB4_6 Depth=1
	s_wait_dscnt 0x0
	s_barrier_signal -1
	s_barrier_wait -1
	ds_load_b128 v[26:29], v11 offset:3072
	ds_load_b64 v[4:5], v11 offset:3088
	s_wait_dscnt 0x0
	v_div_scale_f64 v[30:31], null, v[4:5], v[4:5], v[28:29]
	s_delay_alu instid0(VALU_DEP_1) | instskip(SKIP_1) | instid1(TRANS32_DEP_1)
	v_rcp_f64_e32 v[32:33], v[30:31]
	v_nop
	v_fma_f64 v[34:35], -v[30:31], v[32:33], 1.0
	s_delay_alu instid0(VALU_DEP_1) | instskip(NEXT) | instid1(VALU_DEP_1)
	v_fmac_f64_e32 v[32:33], v[32:33], v[34:35]
	v_fma_f64 v[34:35], -v[30:31], v[32:33], 1.0
	s_delay_alu instid0(VALU_DEP_1) | instskip(SKIP_1) | instid1(VALU_DEP_1)
	v_fmac_f64_e32 v[32:33], v[32:33], v[34:35]
	v_div_scale_f64 v[34:35], vcc_lo, v[28:29], v[4:5], v[28:29]
	v_mul_f64_e32 v[42:43], v[34:35], v[32:33]
	s_delay_alu instid0(VALU_DEP_1) | instskip(NEXT) | instid1(VALU_DEP_1)
	v_fma_f64 v[30:31], -v[30:31], v[42:43], v[34:35]
	v_div_fmas_f64 v[30:31], v[30:31], v[32:33], v[42:43]
	v_mul_f64_e32 v[32:33], 0x3fe47e0f66afed07, v[28:29]
	s_delay_alu instid0(VALU_DEP_2) | instskip(NEXT) | instid1(VALU_DEP_1)
	v_div_fixup_f64 v[28:29], v[30:31], v[4:5], v[28:29]
	v_mul_f64_e32 v[28:29], v[32:33], v[28:29]
	s_delay_alu instid0(VALU_DEP_1)
	v_cmp_ge_f64_e32 vcc_lo, v[26:27], v[28:29]
	s_cbranch_vccnz .LBB4_175
; %bb.169:                              ;   in Loop: Header=BB4_6 Depth=1
	ds_load_b32 v30, v11 offset:3096
	v_mul_f64_e32 v[4:5], 0x3fe47e0f66afed07, v[4:5]
	s_mov_b32 s54, 0
	s_mov_b32 s6, exec_lo
	s_wait_dscnt 0x0
	v_dual_mov_b32 v10, 2 :: v_dual_add_nc_u32 v3, v30, v2
	global_load_b64 v[26:27], v3, s[22:23] scale_offset
	s_wait_loadcnt 0x0
	v_cmpx_ge_f64_e64 |v[26:27]|, v[4:5]
	s_cbranch_execz .LBB4_174
; %bb.170:                              ;   in Loop: Header=BB4_6 Depth=1
	s_and_saveexec_b32 s7, s5
	s_cbranch_execz .LBB4_173
; %bb.171:                              ;   in Loop: Header=BB4_6 Depth=1
	v_mad_u32 v4, s51, v6, v0
	v_add3_u32 v2, v0, v6, v2
	v_mov_b32_e32 v10, v0
	s_mov_b32 s5, 0
	s_delay_alu instid0(VALU_DEP_2) | instskip(NEXT) | instid1(VALU_DEP_1)
	v_dual_ashrrev_i32 v3, 31, v2 :: v_dual_ashrrev_i32 v5, 31, v4
	v_lshl_add_u64 v[2:3], v[2:3], 3, s[36:37]
	s_delay_alu instid0(VALU_DEP_2)
	v_lshl_add_u64 v[4:5], v[4:5], 3, s[36:37]
.LBB4_172:                              ;   Parent Loop BB4_6 Depth=1
                                        ; =>  This Inner Loop Header: Depth=2
	global_load_b64 v[26:27], v[2:3], off
	v_add_nc_u32_e32 v10, 0x100, v10
	s_wait_xcnt 0x0
	v_add_nc_u64_e32 v[2:3], 0x800, v[2:3]
	s_delay_alu instid0(VALU_DEP_2)
	v_cmp_ge_i32_e32 vcc_lo, v10, v40
	s_or_b32 s5, vcc_lo, s5
	s_wait_loadcnt 0x0
	global_store_b64 v[4:5], v[26:27], off
	s_wait_xcnt 0x0
	v_add_nc_u64_e32 v[4:5], 0x800, v[4:5]
	s_and_not1_b32 exec_lo, exec_lo, s5
	s_cbranch_execnz .LBB4_172
.LBB4_173:                              ;   in Loop: Header=BB4_6 Depth=1
	s_or_b32 exec_lo, exec_lo, s7
	v_mov_b32_e32 v10, 1
	s_mov_b32 s54, exec_lo
	s_wait_storecnt 0x0
	s_barrier_signal -1
	s_barrier_wait -1
.LBB4_174:                              ;   in Loop: Header=BB4_6 Depth=1
	s_or_b32 exec_lo, exec_lo, s6
	s_branch .LBB4_176
.LBB4_175:                              ;   in Loop: Header=BB4_6 Depth=1
	v_dual_mov_b32 v10, 1 :: v_dual_mov_b32 v30, v6
	s_mov_b32 s54, -1
.LBB4_176:                              ;   in Loop: Header=BB4_6 Depth=1
	s_delay_alu instid0(VALU_DEP_1) | instskip(SKIP_1) | instid1(VALU_DEP_1)
	v_add_nc_u32_e32 v2, v10, v6
	s_mov_b32 s5, exec_lo
	v_add_nc_u32_e32 v3, -1, v2
	s_delay_alu instid0(VALU_DEP_1)
	v_cmpx_ne_u32_e64 v30, v3
	s_cbranch_execz .LBB4_192
; %bb.177:                              ;   in Loop: Header=BB4_6 Depth=1
	s_and_saveexec_b32 s6, s2
	s_cbranch_execz .LBB4_179
; %bb.178:                              ;   in Loop: Header=BB4_6 Depth=1
	v_mul_lo_u32 v4, v3, s49
	v_mul_lo_u32 v26, v30, s49
	global_load_b64 v[4:5], v4, s[8:9] scale_offset
	s_wait_loadcnt 0x0
	global_store_b64 v26, v[4:5], s[8:9] scale_offset
.LBB4_179:                              ;   in Loop: Header=BB4_6 Depth=1
	s_wait_xcnt 0x0
	s_or_b32 exec_lo, exec_lo, s6
	v_sub_nc_u32_e32 v4, v30, v2
	s_mov_b32 s6, exec_lo
	s_delay_alu instid0(VALU_DEP_1)
	v_cmpx_lt_i32_e64 v0, v4
	s_cbranch_execz .LBB4_182
; %bb.180:                              ;   in Loop: Header=BB4_6 Depth=1
	v_add3_u32 v5, v0, v10, v6
	v_mad_u32 v26, v3, s19, v2
	v_mov_b32_e32 v27, v0
	s_mov_b32 s7, 0
	s_delay_alu instid0(VALU_DEP_3)
	v_mad_u32 v5, s19, v5, v30
.LBB4_181:                              ;   Parent Loop BB4_6 Depth=1
                                        ; =>  This Inner Loop Header: Depth=2
	s_delay_alu instid0(VALU_DEP_2)
	v_add_nc_u32_e32 v28, v26, v27
	v_add_nc_u32_e32 v27, 0x100, v27
	global_load_b64 v[28:29], v28, s[8:9] scale_offset
	v_cmp_ge_i32_e32 vcc_lo, v27, v4
	s_or_b32 s7, vcc_lo, s7
	s_wait_loadcnt 0x0
	global_store_b64 v5, v[28:29], s[8:9] scale_offset
	s_wait_xcnt 0x0
	v_add_nc_u32_e32 v5, s40, v5
	s_and_not1_b32 exec_lo, exec_lo, s7
	s_cbranch_execnz .LBB4_181
.LBB4_182:                              ;   in Loop: Header=BB4_6 Depth=1
	s_or_b32 exec_lo, exec_lo, s6
	v_xad_u32 v4, v30, -1, s20
	s_mov_b32 s6, exec_lo
	s_delay_alu instid0(VALU_DEP_1)
	v_cmpx_lt_i32_e64 v0, v4
	s_cbranch_execz .LBB4_185
; %bb.183:                              ;   in Loop: Header=BB4_6 Depth=1
	v_mul_lo_u32 v5, v3, s19
	v_mad_u32 v3, s49, v30, 1
	v_mov_b32_e32 v26, v0
	s_mov_b32 s7, 0
	s_delay_alu instid0(VALU_DEP_3)
	v_add3_u32 v5, v30, v5, 1
.LBB4_184:                              ;   Parent Loop BB4_6 Depth=1
                                        ; =>  This Inner Loop Header: Depth=2
	s_delay_alu instid0(VALU_DEP_1) | instskip(SKIP_4) | instid1(VALU_DEP_1)
	v_add_nc_u32_e32 v27, v5, v26
	global_load_b64 v[28:29], v27, s[8:9] scale_offset
	s_wait_xcnt 0x0
	v_add_nc_u32_e32 v27, v3, v26
	v_add_nc_u32_e32 v26, 0x100, v26
	v_cmp_ge_i32_e32 vcc_lo, v26, v4
	s_or_b32 s7, vcc_lo, s7
	s_wait_loadcnt 0x0
	global_store_b64 v27, v[28:29], s[8:9] scale_offset
	s_wait_xcnt 0x0
	s_and_not1_b32 exec_lo, exec_lo, s7
	s_cbranch_execnz .LBB4_184
.LBB4_185:                              ;   in Loop: Header=BB4_6 Depth=1
	s_or_b32 exec_lo, exec_lo, s6
	s_delay_alu instid0(SALU_CYCLE_1)
	s_mov_b32 s6, exec_lo
	s_wait_storecnt 0x0
	s_barrier_signal -1
	s_barrier_wait -1
	v_cmpx_lt_u32_e64 v0, v6
	s_cbranch_execz .LBB4_188
; %bb.186:                              ;   in Loop: Header=BB4_6 Depth=1
	v_dual_mov_b32 v4, v9 :: v_dual_ashrrev_i32 v3, 31, v2
	v_mov_b32_e32 v26, v0
	s_mov_b32 s7, 0
.LBB4_187:                              ;   Parent Loop BB4_6 Depth=1
                                        ; =>  This Inner Loop Header: Depth=2
	s_delay_alu instid0(VALU_DEP_2) | instskip(NEXT) | instid1(VALU_DEP_2)
	v_ashrrev_i32_e32 v5, 31, v4
	v_add_nc_u32_e32 v26, 0x100, v26
	s_delay_alu instid0(VALU_DEP_2) | instskip(SKIP_1) | instid1(VALU_DEP_3)
	v_add_nc_u64_e32 v[28:29], v[4:5], v[2:3]
	v_add_nc_u32_e32 v5, v30, v4
	v_cmp_ge_u32_e32 vcc_lo, v26, v6
	v_add_nc_u32_e32 v4, s40, v4
	s_or_b32 s7, vcc_lo, s7
	s_delay_alu instid0(VALU_DEP_4)
	v_lshl_add_u64 v[28:29], v[28:29], 3, s[8:9]
	s_clause 0x1
	global_load_b64 v[32:33], v5, s[8:9] scale_offset
	global_load_b64 v[34:35], v[28:29], off offset:-8
	s_wait_loadcnt 0x1
	global_store_b64 v[28:29], v[32:33], off offset:-8
	s_wait_loadcnt 0x0
	global_store_b64 v5, v[34:35], s[8:9] scale_offset
	s_wait_xcnt 0x0
	s_and_not1_b32 exec_lo, exec_lo, s7
	s_cbranch_execnz .LBB4_187
.LBB4_188:                              ;   in Loop: Header=BB4_6 Depth=1
	s_or_b32 exec_lo, exec_lo, s6
	v_cmp_lt_u32_e32 vcc_lo, v0, v2
	s_and_b32 exec_lo, exec_lo, vcc_lo
	s_cbranch_execz .LBB4_191
; %bb.189:                              ;   in Loop: Header=BB4_6 Depth=1
	v_add_nc_u64_e32 v[4:5], v[12:13], v[10:11]
	v_add_nc_u32_e32 v26, v12, v30
	s_mov_b32 s55, 0
	s_mov_b64 s[6:7], s[22:23]
	s_delay_alu instid0(VALU_DEP_1) | instskip(NEXT) | instid1(VALU_DEP_3)
	v_dual_mov_b32 v3, v0 :: v_dual_ashrrev_i32 v27, 31, v26
	v_add_nc_u64_e32 v[28:29], v[4:5], v[6:7]
	s_delay_alu instid0(VALU_DEP_2) | instskip(NEXT) | instid1(VALU_DEP_2)
	v_lshlrev_b64_e32 v[4:5], 3, v[26:27]
	v_lshl_add_u64 v[26:27], v[28:29], 3, -8
.LBB4_190:                              ;   Parent Loop BB4_6 Depth=1
                                        ; =>  This Inner Loop Header: Depth=2
	s_delay_alu instid0(VALU_DEP_2) | instskip(NEXT) | instid1(VALU_DEP_2)
	v_add_nc_u64_e32 v[28:29], s[6:7], v[4:5]
	v_add_nc_u64_e32 v[32:33], s[6:7], v[26:27]
	v_add_nc_u32_e32 v3, 0x100, v3
	s_add_nc_u64 s[6:7], s[6:7], s[46:47]
	s_clause 0x1
	global_load_b64 v[34:35], v[28:29], off
	global_load_b64 v[42:43], v[32:33], off
	v_cmp_ge_u32_e32 vcc_lo, v3, v2
	s_wait_loadcnt 0x1
	global_store_b64 v[32:33], v[34:35], off
	s_wait_loadcnt 0x0
	global_store_b64 v[28:29], v[42:43], off
	s_or_b32 s55, vcc_lo, s55
	s_wait_xcnt 0x0
	s_and_not1_b32 exec_lo, exec_lo, s55
	s_cbranch_execnz .LBB4_190
.LBB4_191:                              ;   in Loop: Header=BB4_6 Depth=1
	s_wait_storecnt 0x0
	s_barrier_signal -1
	s_barrier_wait -1
.LBB4_192:                              ;   in Loop: Header=BB4_6 Depth=1
	s_or_b32 exec_lo, exec_lo, s5
	s_xor_b32 s5, s54, -1
	s_delay_alu instid0(SALU_CYCLE_1) | instskip(NEXT) | instid1(SALU_CYCLE_1)
	s_and_saveexec_b32 s6, s5
	s_xor_b32 s6, exec_lo, s6
	s_cbranch_execz .LBB4_200
; %bb.193:                              ;   in Loop: Header=BB4_6 Depth=1
	s_mov_b32 s7, exec_lo
	v_cmpx_gt_i32_e64 s50, v6
	s_cbranch_execz .LBB4_197
; %bb.194:                              ;   in Loop: Header=BB4_6 Depth=1
	v_add_nc_u32_e32 v31, v6, v37
	s_delay_alu instid0(VALU_DEP_1)
	v_cmp_gt_i32_e32 vcc_lo, s20, v31
	s_and_b32 exec_lo, exec_lo, vcc_lo
	s_cbranch_execz .LBB4_197
; %bb.195:                              ;   in Loop: Header=BB4_6 Depth=1
	v_mul_lo_u32 v10, v41, s20
	s_delay_alu instid0(VALU_DEP_1)
	v_lshl_add_u64 v[2:3], v[10:11], 3, v[24:25]
	s_clause 0x1
	global_load_b128 v[22:25], v[20:21], off
	global_load_b64 v[4:5], v[2:3], off offset:8
	v_add_nc_u32_e32 v10, v31, v10
	s_wait_loadcnt 0x1
	v_div_scale_f64 v[26:27], null, v[24:25], v[24:25], v[22:23]
	s_wait_loadcnt 0x0
	v_div_scale_f64 v[2:3], null, v[24:25], v[24:25], v[4:5]
	v_div_scale_f64 v[44:45], vcc_lo, v[4:5], v[24:25], v[4:5]
	s_delay_alu instid0(VALU_DEP_3) | instskip(NEXT) | instid1(VALU_DEP_2)
	v_rcp_f64_e32 v[32:33], v[26:27]
	v_rcp_f64_e32 v[28:29], v[2:3]
	s_delay_alu instid0(TRANS32_DEP_2) | instskip(NEXT) | instid1(TRANS32_DEP_1)
	v_fma_f64 v[42:43], -v[26:27], v[32:33], 1.0
	v_fma_f64 v[34:35], -v[2:3], v[28:29], 1.0
	s_delay_alu instid0(VALU_DEP_2) | instskip(NEXT) | instid1(VALU_DEP_2)
	v_fmac_f64_e32 v[32:33], v[32:33], v[42:43]
	v_fmac_f64_e32 v[28:29], v[28:29], v[34:35]
	s_delay_alu instid0(VALU_DEP_2) | instskip(NEXT) | instid1(VALU_DEP_2)
	v_fma_f64 v[42:43], -v[26:27], v[32:33], 1.0
	v_fma_f64 v[34:35], -v[2:3], v[28:29], 1.0
	s_delay_alu instid0(VALU_DEP_2) | instskip(NEXT) | instid1(VALU_DEP_2)
	v_fmac_f64_e32 v[32:33], v[32:33], v[42:43]
	v_fmac_f64_e32 v[28:29], v[28:29], v[34:35]
	v_div_scale_f64 v[34:35], s5, v[22:23], v[24:25], v[22:23]
	s_delay_alu instid0(VALU_DEP_2) | instskip(NEXT) | instid1(VALU_DEP_2)
	v_mul_f64_e32 v[42:43], v[44:45], v[28:29]
	v_mul_f64_e32 v[46:47], v[34:35], v[32:33]
	s_delay_alu instid0(VALU_DEP_2) | instskip(NEXT) | instid1(VALU_DEP_2)
	v_fma_f64 v[2:3], -v[2:3], v[42:43], v[44:45]
	v_fma_f64 v[26:27], -v[26:27], v[46:47], v[34:35]
	s_delay_alu instid0(VALU_DEP_2) | instskip(SKIP_2) | instid1(VALU_DEP_2)
	v_div_fmas_f64 v[2:3], v[2:3], v[28:29], v[42:43]
	s_mov_b32 vcc_lo, s5
	s_mov_b32 s5, 0
	v_div_fmas_f64 v[26:27], v[26:27], v[32:33], v[46:47]
	s_delay_alu instid0(VALU_DEP_2) | instskip(NEXT) | instid1(VALU_DEP_2)
	v_div_fixup_f64 v[2:3], v[2:3], v[24:25], v[4:5]
	v_div_fixup_f64 v[4:5], v[26:27], v[24:25], v[22:23]
	s_delay_alu instid0(VALU_DEP_1) | instskip(NEXT) | instid1(VALU_DEP_1)
	v_fma_f64 v[22:23], v[2:3], v[4:5], -1.0
	v_mul_f64_e32 v[22:23], v[24:25], v[22:23]
	s_delay_alu instid0(VALU_DEP_1) | instskip(NEXT) | instid1(VALU_DEP_1)
	v_div_scale_f64 v[24:25], null, v[22:23], v[22:23], 1.0
	v_rcp_f64_e32 v[26:27], v[24:25]
	v_nop
	s_delay_alu instid0(TRANS32_DEP_1) | instskip(NEXT) | instid1(VALU_DEP_1)
	v_fma_f64 v[28:29], -v[24:25], v[26:27], 1.0
	v_fmac_f64_e32 v[26:27], v[26:27], v[28:29]
	s_delay_alu instid0(VALU_DEP_1) | instskip(NEXT) | instid1(VALU_DEP_1)
	v_fma_f64 v[28:29], -v[24:25], v[26:27], 1.0
	v_fmac_f64_e32 v[26:27], v[26:27], v[28:29]
	v_div_scale_f64 v[28:29], vcc_lo, 1.0, v[22:23], 1.0
	s_delay_alu instid0(VALU_DEP_1) | instskip(NEXT) | instid1(VALU_DEP_1)
	v_mul_f64_e32 v[32:33], v[28:29], v[26:27]
	v_fma_f64 v[24:25], -v[24:25], v[32:33], v[28:29]
	v_mad_u32 v28, s51, v6, v37
	s_delay_alu instid0(VALU_DEP_1) | instskip(NEXT) | instid1(VALU_DEP_1)
	v_ashrrev_i32_e32 v29, 31, v28
	v_lshl_add_u64 v[28:29], v[28:29], 3, s[36:37]
	s_delay_alu instid0(VALU_DEP_4) | instskip(SKIP_1) | instid1(VALU_DEP_1)
	v_div_fmas_f64 v[24:25], v[24:25], v[26:27], v[32:33]
	v_mul_lo_u32 v26, s49, v6
	v_add_nc_u32_e32 v32, v38, v26
	s_delay_alu instid0(VALU_DEP_3) | instskip(SKIP_2) | instid1(VALU_DEP_2)
	v_div_fixup_f64 v[22:23], v[24:25], v[22:23], 1.0
	v_add_nc_u32_e32 v24, v37, v26
	v_lshl_add_u64 v[26:27], v[10:11], 3, s[36:37]
	v_ashrrev_i32_e32 v25, 31, v24
	s_delay_alu instid0(VALU_DEP_1)
	v_lshl_add_u64 v[24:25], v[24:25], 3, s[38:39]
.LBB4_196:                              ;   Parent Loop BB4_6 Depth=1
                                        ; =>  This Inner Loop Header: Depth=2
	global_load_b64 v[34:35], v[28:29], off
	global_load_b64 v[42:43], v[26:27], off
	v_add_nc_u32_e32 v31, 0x100, v31
	s_delay_alu instid0(VALU_DEP_1) | instskip(SKIP_3) | instid1(VALU_DEP_1)
	v_cmp_le_i32_e32 vcc_lo, s20, v31
	s_or_b32 s5, vcc_lo, s5
	s_wait_loadcnt 0x0
	v_fma_f64 v[34:35], v[2:3], v[34:35], -v[42:43]
	v_mul_f64_e32 v[34:35], v[22:23], v[34:35]
	global_store_b64 v[24:25], v[34:35], off
	global_load_b64 v[34:35], v[26:27], off
	global_load_b64 v[42:43], v[28:29], off
	v_add_nc_u64_e32 v[24:25], 0x800, v[24:25]
	s_wait_xcnt 0x1
	v_add_nc_u64_e32 v[26:27], 0x800, v[26:27]
	s_wait_xcnt 0x0
	v_add_nc_u64_e32 v[28:29], 0x800, v[28:29]
	s_wait_loadcnt 0x0
	v_fma_f64 v[34:35], v[4:5], v[34:35], -v[42:43]
	s_delay_alu instid0(VALU_DEP_1)
	v_mul_f64_e32 v[34:35], v[22:23], v[34:35]
	global_store_b64 v32, v[34:35], s[8:9] scale_offset
	s_wait_xcnt 0x0
	v_add_nc_u32_e32 v32, 0x100, v32
	s_and_not1_b32 exec_lo, exec_lo, s5
	s_cbranch_execnz .LBB4_196
.LBB4_197:                              ;   in Loop: Header=BB4_6 Depth=1
	s_or_b32 exec_lo, exec_lo, s7
	s_and_saveexec_b32 s5, s2
	s_cbranch_execz .LBB4_199
; %bb.198:                              ;   in Loop: Header=BB4_6 Depth=1
	global_load_b64 v[2:3], v[20:21], off
	v_mul_lo_u32 v4, v6, s19
	v_lshl_add_u64 v[22:23], v[6:7], 3, s[8:9]
	v_mul_lo_u32 v10, v41, s51
	s_delay_alu instid0(VALU_DEP_3) | instskip(NEXT) | instid1(VALU_DEP_1)
	v_ashrrev_i32_e32 v5, 31, v4
	v_lshl_add_u64 v[4:5], v[4:5], 3, v[22:23]
	s_wait_loadcnt 0x0
	global_store_b64 v[4:5], v[2:3], off
	global_load_b64 v[2:3], v[20:21], off offset:8
	s_wait_loadcnt 0x0
	global_store_b64 v[4:5], v[2:3], off offset:8
	global_load_b64 v[2:3], v10, s[22:23] scale_offset
	v_mul_lo_u32 v4, v41, s49
	s_wait_loadcnt 0x0
	global_store_b64 v4, v[2:3], s[8:9] scale_offset
.LBB4_199:                              ;   in Loop: Header=BB4_6 Depth=1
	s_wait_xcnt 0x0
	s_or_b32 exec_lo, exec_lo, s5
	s_wait_storecnt 0x0
	s_barrier_signal -1
	s_barrier_wait -1
                                        ; implicit-def: $vgpr20_vgpr21
                                        ; implicit-def: $vgpr22_vgpr23
                                        ; implicit-def: $vgpr39
.LBB4_200:                              ;   in Loop: Header=BB4_6 Depth=1
	s_or_saveexec_b32 s6, s6
	v_mov_b32_e32 v4, 2
	s_mov_b32 s5, 0
	s_mov_b32 s7, 0
	s_xor_b32 exec_lo, exec_lo, s6
	s_cbranch_execz .LBB4_207
; %bb.201:                              ;   in Loop: Header=BB4_6 Depth=1
	global_load_b64 v[2:3], v[20:21], off
	s_wait_xcnt 0x0
	s_and_saveexec_b32 s7, s2
	s_cbranch_execz .LBB4_203
; %bb.202:                              ;   in Loop: Header=BB4_6 Depth=1
	v_mul_lo_u32 v4, v6, s49
	s_wait_loadcnt 0x0
	global_store_b64 v4, v[2:3], s[8:9] scale_offset
.LBB4_203:                              ;   in Loop: Header=BB4_6 Depth=1
	s_wait_xcnt 0x0
	s_or_b32 exec_lo, exec_lo, s7
	s_and_saveexec_b32 s7, s4
	s_cbranch_execz .LBB4_206
; %bb.204:                              ;   in Loop: Header=BB4_6 Depth=1
	s_wait_loadcnt 0x0
	v_div_scale_f64 v[4:5], null, v[2:3], v[2:3], 1.0
	s_mov_b32 s4, 0
	v_rcp_f64_e32 v[20:21], v[4:5]
	v_nop
	s_delay_alu instid0(TRANS32_DEP_1) | instskip(NEXT) | instid1(VALU_DEP_1)
	v_fma_f64 v[24:25], -v[4:5], v[20:21], 1.0
	v_fmac_f64_e32 v[20:21], v[20:21], v[24:25]
	s_delay_alu instid0(VALU_DEP_1) | instskip(NEXT) | instid1(VALU_DEP_1)
	v_fma_f64 v[24:25], -v[4:5], v[20:21], 1.0
	v_fmac_f64_e32 v[20:21], v[20:21], v[24:25]
	v_div_scale_f64 v[24:25], vcc_lo, 1.0, v[2:3], 1.0
	s_delay_alu instid0(VALU_DEP_1) | instskip(NEXT) | instid1(VALU_DEP_1)
	v_mul_f64_e32 v[26:27], v[24:25], v[20:21]
	v_fma_f64 v[4:5], -v[4:5], v[26:27], v[24:25]
	s_delay_alu instid0(VALU_DEP_1) | instskip(SKIP_1) | instid1(VALU_DEP_2)
	v_div_fmas_f64 v[4:5], v[4:5], v[20:21], v[26:27]
	v_mov_b32_e32 v20, v0
	v_div_fixup_f64 v[2:3], v[4:5], v[2:3], 1.0
	v_mul_lo_u32 v4, v6, s19
	s_delay_alu instid0(VALU_DEP_1)
	v_ashrrev_i32_e32 v5, 31, v4
.LBB4_205:                              ;   Parent Loop BB4_6 Depth=1
                                        ; =>  This Inner Loop Header: Depth=2
	s_delay_alu instid0(VALU_DEP_4) | instskip(SKIP_1) | instid1(VALU_DEP_2)
	v_add_nc_u32_e32 v10, v6, v20
	v_add_nc_u32_e32 v20, 0x100, v20
	v_add_nc_u64_e32 v[24:25], v[10:11], v[22:23]
	s_delay_alu instid0(VALU_DEP_4) | instskip(NEXT) | instid1(VALU_DEP_3)
	v_add_nc_u64_e32 v[26:27], v[10:11], v[4:5]
	v_cmp_ge_i32_e32 vcc_lo, v20, v39
	s_or_b32 s4, vcc_lo, s4
	s_delay_alu instid0(VALU_DEP_3) | instskip(NEXT) | instid1(VALU_DEP_3)
	v_lshl_add_u64 v[24:25], v[24:25], 3, s[22:23]
	v_lshl_add_u64 v[26:27], v[26:27], 3, s[8:9]
	global_load_b64 v[24:25], v[24:25], off offset:8
	s_wait_loadcnt 0x0
	v_mul_f64_e32 v[24:25], v[2:3], v[24:25]
	global_store_b64 v[26:27], v[24:25], off offset:8
	s_wait_xcnt 0x0
	s_and_not1_b32 exec_lo, exec_lo, s4
	s_cbranch_execnz .LBB4_205
.LBB4_206:                              ;   in Loop: Header=BB4_6 Depth=1
	s_or_b32 exec_lo, exec_lo, s7
	v_mov_b32_e32 v4, 1
	s_mov_b32 s7, exec_lo
	s_wait_loadcnt 0x0
	s_wait_storecnt 0x0
	s_barrier_signal -1
	s_barrier_wait -1
.LBB4_207:                              ;   in Loop: Header=BB4_6 Depth=1
	s_or_b32 exec_lo, exec_lo, s6
	s_delay_alu instid0(SALU_CYCLE_1)
	s_and_b32 vcc_lo, exec_lo, s5
	s_cbranch_vccz .LBB4_211
.LBB4_208:                              ;   in Loop: Header=BB4_6 Depth=1
	ds_load_b32 v2, v11 offset:3100
	s_wait_dscnt 0x0
	v_readfirstlane_b32 s4, v2
	s_cmp_eq_u32 s4, 0
	s_cselect_b32 s4, -1, 0
	s_delay_alu instid0(SALU_CYCLE_1) | instskip(NEXT) | instid1(SALU_CYCLE_1)
	s_and_b32 s5, s2, s4
	s_and_saveexec_b32 s4, s5
; %bb.209:                              ;   in Loop: Header=BB4_6 Depth=1
	ds_store_b32 v11, v41 offset:3100
; %bb.210:                              ;   in Loop: Header=BB4_6 Depth=1
	s_or_b32 exec_lo, exec_lo, s4
	v_dual_mov_b32 v4, 1 :: v_dual_mov_b32 v30, v6
	s_mov_b32 s7, -1
.LBB4_211:                              ;   in Loop: Header=BB4_6 Depth=1
	s_and_saveexec_b32 s4, s2
	s_cbranch_execz .LBB4_4
; %bb.212:                              ;   in Loop: Header=BB4_6 Depth=1
	v_lshl_add_u64 v[2:3], v[6:7], 2, s[16:17]
	s_xor_b32 s5, s7, -1
	s_delay_alu instid0(SALU_CYCLE_1) | instskip(NEXT) | instid1(SALU_CYCLE_1)
	s_and_saveexec_b32 s6, s5
	s_xor_b32 s5, exec_lo, s6
	s_cbranch_execz .LBB4_214
; %bb.213:                              ;   in Loop: Header=BB4_6 Depth=1
	v_not_b32_e32 v20, v30
                                        ; implicit-def: $vgpr30
	s_delay_alu instid0(VALU_DEP_1)
	v_mov_b32_e32 v21, v20
	global_store_b64 v[2:3], v[20:21], off
                                        ; implicit-def: $vgpr2_vgpr3
.LBB4_214:                              ;   in Loop: Header=BB4_6 Depth=1
	s_wait_xcnt 0x0
	s_and_not1_saveexec_b32 s5, s5
	s_cbranch_execz .LBB4_4
; %bb.215:                              ;   in Loop: Header=BB4_6 Depth=1
	v_add_nc_u32_e32 v5, 1, v30
	global_store_b32 v[2:3], v5, off
	s_branch .LBB4_4
.LBB4_216:
	s_or_b32 exec_lo, exec_lo, s41
	s_and_saveexec_b32 s0, s2
	s_cbranch_execz .LBB4_218
.LBB4_217:
	v_mov_b32_e32 v2, 0
	s_lshl_b64 s[2:3], s[34:35], 2
	s_delay_alu instid0(SALU_CYCLE_1)
	s_add_nc_u64 s[4:5], s[12:13], s[2:3]
	s_add_nc_u64 s[2:3], s[10:11], s[2:3]
	ds_load_b32 v3, v2 offset:3100
	global_store_b32 v2, v6, s[4:5]
	s_wait_dscnt 0x0
	global_store_b32 v2, v3, s[2:3]
.LBB4_218:
	s_wait_xcnt 0x0
	s_or_b32 exec_lo, exec_lo, s0
	s_delay_alu instid0(SALU_CYCLE_1)
	s_mov_b32 s1, exec_lo
	v_cmpx_gt_i32_e64 s20, v6
	s_cbranch_execz .LBB4_239
; %bb.219:
	v_dual_ashrrev_i32 v7, 31, v6 :: v_dual_mov_b32 v9, 0
	s_add_nc_u64 s[2:3], s[30:31], s[26:27]
	s_ashr_i32 s5, s21, 31
	s_mov_b32 s4, s21
	s_delay_alu instid0(VALU_DEP_1)
	v_lshlrev_b64_e32 v[2:3], 3, v[6:7]
	v_mov_b32_e32 v10, v6
	s_ashr_i32 s7, s19, 31
	s_mov_b32 s6, s19
	s_mov_b32 s10, 0
	s_lshl_b64 s[6:7], s[6:7], 3
	v_cmp_ne_u32_e32 vcc_lo, 0, v6
	v_add_nc_u64_e32 v[4:5], s[2:3], v[2:3]
	s_add_nc_u64 s[2:3], s[24:25], s[28:29]
	s_delay_alu instid0(SALU_CYCLE_1) | instskip(SKIP_3) | instid1(VALU_DEP_2)
	v_add_nc_u64_e32 v[2:3], s[2:3], v[2:3]
	s_lshl_b64 s[2:3], s[4:5], 3
	s_ashr_i32 s5, s20, 31
	s_mov_b32 s4, s20
	v_add_nc_u64_e32 v[4:5], v[4:5], v[8:9]
	s_lshl_b64 s[4:5], s[4:5], 3
	s_delay_alu instid0(VALU_DEP_1)
	v_add_nc_u64_e32 v[4:5], s[14:15], v[4:5]
	s_branch .LBB4_221
.LBB4_220:                              ;   in Loop: Header=BB4_221 Depth=1
	s_or_b32 exec_lo, exec_lo, s11
	v_add_nc_u32_e32 v10, s21, v10
	v_add_nc_u64_e32 v[2:3], s[2:3], v[2:3]
	v_add_nc_u64_e32 v[4:5], s[2:3], v[4:5]
	s_delay_alu instid0(VALU_DEP_3) | instskip(SKIP_1) | instid1(SALU_CYCLE_1)
	v_cmp_le_i32_e64 s0, s20, v10
	s_or_b32 s10, s0, s10
	s_and_not1_b32 exec_lo, exec_lo, s10
	s_cbranch_execz .LBB4_239
.LBB4_221:                              ; =>This Loop Header: Depth=1
                                        ;     Child Loop BB4_224 Depth 2
                                        ;       Child Loop BB4_227 Depth 3
                                        ;         Child Loop BB4_229 Depth 4
                                        ;     Child Loop BB4_235 Depth 2
                                        ;       Child Loop BB4_237 Depth 3
	v_sub_nc_u32_e32 v7, s20, v10
	s_mov_b32 s11, exec_lo
	s_delay_alu instid0(VALU_DEP_1) | instskip(NEXT) | instid1(VALU_DEP_1)
	v_min_i32_e32 v11, s21, v7
	v_add_nc_u32_e32 v12, v11, v10
	v_cmpx_lt_i32_e32 0, v11
	s_cbranch_execz .LBB4_231
; %bb.222:                              ;   in Loop: Header=BB4_221 Depth=1
	v_mov_b64_e32 v[14:15], v[4:5]
	v_mov_b64_e32 v[16:17], v[2:3]
	v_mov_b32_e32 v18, v10
	s_mov_b32 s12, 0
	s_branch .LBB4_224
.LBB4_223:                              ;   in Loop: Header=BB4_224 Depth=2
	s_or_b32 exec_lo, exec_lo, s13
	v_add_nc_u32_e32 v18, 1, v18
	v_add_nc_u64_e32 v[16:17], 8, v[16:17]
	v_add_nc_u64_e32 v[14:15], 8, v[14:15]
	s_delay_alu instid0(VALU_DEP_3) | instskip(SKIP_1) | instid1(SALU_CYCLE_1)
	v_cmp_ge_i32_e64 s0, v18, v12
	s_or_b32 s12, s0, s12
	s_and_not1_b32 exec_lo, exec_lo, s12
	s_cbranch_execz .LBB4_231
.LBB4_224:                              ;   Parent Loop BB4_221 Depth=1
                                        ; =>  This Loop Header: Depth=2
                                        ;       Child Loop BB4_227 Depth 3
                                        ;         Child Loop BB4_229 Depth 4
	s_delay_alu instid0(VALU_DEP_1) | instskip(SKIP_1) | instid1(VALU_DEP_1)
	v_sub_nc_u32_e32 v13, v12, v18
	s_mov_b32 s13, exec_lo
	v_cmpx_lt_i32_e64 v0, v13
	s_cbranch_execz .LBB4_223
; %bb.225:                              ;   in Loop: Header=BB4_224 Depth=2
	v_mul_lo_u32 v22, v18, s19
	v_dual_mov_b32 v8, v0 :: v_dual_ashrrev_i32 v19, 31, v18
	v_mov_b64_e32 v[20:21], v[14:15]
	s_mov_b32 s14, 0
	s_delay_alu instid0(VALU_DEP_2) | instskip(NEXT) | instid1(VALU_DEP_4)
	v_lshl_add_u64 v[24:25], v[18:19], 3, s[8:9]
	v_ashrrev_i32_e32 v23, 31, v22
	s_delay_alu instid0(VALU_DEP_1)
	v_lshl_add_u64 v[22:23], v[22:23], 3, v[24:25]
	s_branch .LBB4_227
.LBB4_226:                              ;   in Loop: Header=BB4_227 Depth=3
	s_or_b32 exec_lo, exec_lo, s15
	v_lshl_add_u64 v[26:27], v[8:9], 3, v[22:23]
	v_add_nc_u32_e32 v8, 0x100, v8
	v_add_nc_u64_e32 v[20:21], 0x800, v[20:21]
	global_load_b64 v[28:29], v[26:27], off
	v_cmp_ge_i32_e64 s0, v8, v13
	s_or_b32 s14, s0, s14
	s_wait_loadcnt 0x0
	v_add_f64_e64 v[24:25], v[28:29], -v[24:25]
	global_store_b64 v[26:27], v[24:25], off
	s_wait_xcnt 0x0
	s_and_not1_b32 exec_lo, exec_lo, s14
	s_cbranch_execz .LBB4_223
.LBB4_227:                              ;   Parent Loop BB4_221 Depth=1
                                        ;     Parent Loop BB4_224 Depth=2
                                        ; =>    This Loop Header: Depth=3
                                        ;         Child Loop BB4_229 Depth 4
	v_mov_b64_e32 v[24:25], 0
	s_and_saveexec_b32 s15, vcc_lo
	s_cbranch_execz .LBB4_226
; %bb.228:                              ;   in Loop: Header=BB4_227 Depth=3
	v_mov_b64_e32 v[24:25], 0
	v_mov_b64_e32 v[26:27], v[20:21]
	;; [unrolled: 1-line block ×3, first 2 shown]
	v_mov_b32_e32 v19, v6
	s_mov_b32 s18, 0
.LBB4_229:                              ;   Parent Loop BB4_221 Depth=1
                                        ;     Parent Loop BB4_224 Depth=2
                                        ;       Parent Loop BB4_227 Depth=3
                                        ; =>      This Inner Loop Header: Depth=4
	global_load_b64 v[30:31], v[26:27], off
	global_load_b64 v[32:33], v[28:29], off
	v_add_nc_u32_e32 v19, -1, v19
	s_wait_xcnt 0x0
	v_add_nc_u64_e32 v[28:29], s[4:5], v[28:29]
	v_add_nc_u64_e32 v[26:27], s[6:7], v[26:27]
	s_delay_alu instid0(VALU_DEP_3)
	v_cmp_eq_u32_e64 s0, 0, v19
	s_or_b32 s18, s0, s18
	s_wait_loadcnt 0x0
	v_fmac_f64_e32 v[24:25], v[30:31], v[32:33]
	s_and_not1_b32 exec_lo, exec_lo, s18
	s_cbranch_execnz .LBB4_229
; %bb.230:                              ;   in Loop: Header=BB4_227 Depth=3
	s_or_b32 exec_lo, exec_lo, s18
	s_branch .LBB4_226
.LBB4_231:                              ;   in Loop: Header=BB4_221 Depth=1
	s_or_b32 exec_lo, exec_lo, s11
	s_delay_alu instid0(SALU_CYCLE_1)
	s_mov_b32 s11, exec_lo
	v_cmpx_gt_i32_e64 s20, v12
	s_cbranch_execz .LBB4_220
; %bb.232:                              ;   in Loop: Header=BB4_221 Depth=1
	v_sub_nc_u32_e32 v7, v7, v11
	s_delay_alu instid0(VALU_DEP_1) | instskip(NEXT) | instid1(VALU_DEP_1)
	v_mul_lo_u32 v26, v7, v11
	v_cmp_lt_i32_e64 s0, v0, v26
	s_and_b32 exec_lo, exec_lo, s0
	s_cbranch_execz .LBB4_220
; %bb.233:                              ;   in Loop: Header=BB4_221 Depth=1
	v_dual_sub_nc_u32 v8, 0, v7 :: v_dual_ashrrev_i32 v13, 31, v12
	v_mul_lo_u32 v18, v10, s19
	s_mov_b32 s12, 0
	s_delay_alu instid0(VALU_DEP_2) | instskip(NEXT) | instid1(VALU_DEP_3)
	v_dual_ashrrev_i32 v28, 31, v7 :: v_dual_max_i32 v27, v7, v8
	v_lshl_add_u64 v[12:13], v[12:13], 3, s[8:9]
	s_delay_alu instid0(VALU_DEP_2) | instskip(NEXT) | instid1(VALU_DEP_4)
	v_cvt_f32_u32_e32 v8, v27
	v_ashrrev_i32_e32 v19, 31, v18
	s_delay_alu instid0(VALU_DEP_2) | instskip(NEXT) | instid1(VALU_DEP_1)
	v_rcp_iflag_f32_e32 v8, v8
	v_lshl_add_u64 v[18:19], v[18:19], 3, v[12:13]
	s_delay_alu instid0(TRANS32_DEP_1) | instskip(NEXT) | instid1(VALU_DEP_1)
	v_dual_mul_f32 v8, 0x4f7ffffe, v8 :: v_dual_sub_nc_u32 v11, 0, v27
	v_cvt_u32_f32_e32 v8, v8
	s_delay_alu instid0(VALU_DEP_1) | instskip(NEXT) | instid1(VALU_DEP_1)
	v_mul_lo_u32 v11, v11, v8
	v_mul_hi_u32 v14, v8, v11
	v_dual_ashrrev_i32 v11, 31, v10 :: v_dual_mov_b32 v15, v9
	s_delay_alu instid0(VALU_DEP_1) | instskip(NEXT) | instid1(VALU_DEP_3)
	v_lshl_add_u64 v[16:17], v[10:11], 3, s[22:23]
	v_add_nc_u32_e32 v14, v8, v14
	v_mov_b32_e32 v8, v0
	s_branch .LBB4_235
.LBB4_234:                              ;   in Loop: Header=BB4_235 Depth=2
	s_or_b32 exec_lo, exec_lo, s13
	s_delay_alu instid0(VALU_DEP_1) | instskip(SKIP_1) | instid1(VALU_DEP_1)
	v_mad_u32 v22, v11, s19, v29
	v_add_nc_u32_e32 v8, 0x100, v8
	v_cmp_ge_i32_e64 s0, v8, v26
	s_or_b32 s12, s0, s12
	v_ashrrev_i32_e32 v23, 31, v22
	s_delay_alu instid0(VALU_DEP_1)
	v_lshl_add_u64 v[22:23], v[22:23], 3, v[18:19]
	global_load_b64 v[24:25], v[22:23], off
	s_wait_loadcnt 0x0
	v_add_f64_e64 v[20:21], v[24:25], -v[20:21]
	global_store_b64 v[22:23], v[20:21], off
	s_wait_xcnt 0x0
	s_and_not1_b32 exec_lo, exec_lo, s12
	s_cbranch_execz .LBB4_220
.LBB4_235:                              ;   Parent Loop BB4_221 Depth=1
                                        ; =>  This Loop Header: Depth=2
                                        ;       Child Loop BB4_237 Depth 3
	s_delay_alu instid0(VALU_DEP_1) | instskip(NEXT) | instid1(VALU_DEP_1)
	v_mul_u64_e32 v[20:21], v[8:9], v[14:15]
	v_mul_lo_u32 v11, v21, v27
	s_delay_alu instid0(VALU_DEP_1) | instskip(NEXT) | instid1(VALU_DEP_1)
	v_dual_add_nc_u32 v20, 1, v21 :: v_dual_sub_nc_u32 v11, v8, v11
	v_cmp_ge_u32_e64 s0, v11, v27
	s_delay_alu instid0(VALU_DEP_1) | instskip(NEXT) | instid1(VALU_DEP_1)
	v_dual_sub_nc_u32 v22, v11, v27 :: v_dual_cndmask_b32 v20, v21, v20, s0
	v_dual_cndmask_b32 v11, v11, v22, s0 :: v_dual_add_nc_u32 v21, 1, v20
	s_delay_alu instid0(VALU_DEP_1) | instskip(NEXT) | instid1(VALU_DEP_1)
	v_cmp_ge_u32_e64 s0, v11, v27
	v_cndmask_b32_e64 v11, v20, v21, s0
	v_mov_b64_e32 v[20:21], 0
	s_delay_alu instid0(VALU_DEP_2) | instskip(NEXT) | instid1(VALU_DEP_1)
	v_xor_b32_e32 v11, v11, v28
	v_sub_nc_u32_e32 v11, v11, v28
	s_delay_alu instid0(VALU_DEP_1) | instskip(NEXT) | instid1(VALU_DEP_1)
	v_mul_lo_u32 v22, v11, v7
	v_sub_nc_u32_e32 v29, v8, v22
	s_and_saveexec_b32 s13, vcc_lo
	s_cbranch_execz .LBB4_234
; %bb.236:                              ;   in Loop: Header=BB4_235 Depth=2
	v_mov_b64_e32 v[20:21], 0
	s_delay_alu instid0(VALU_DEP_2)
	v_dual_mov_b32 v22, v29 :: v_dual_mov_b32 v24, v11
	v_mov_b32_e32 v30, v6
	s_mov_b32 s14, 0
.LBB4_237:                              ;   Parent Loop BB4_221 Depth=1
                                        ;     Parent Loop BB4_235 Depth=2
                                        ; =>    This Inner Loop Header: Depth=3
	s_delay_alu instid0(VALU_DEP_2) | instskip(NEXT) | instid1(VALU_DEP_2)
	v_dual_ashrrev_i32 v23, 31, v22 :: v_dual_ashrrev_i32 v25, 31, v24
	v_add_nc_u32_e32 v30, -1, v30
	s_delay_alu instid0(VALU_DEP_2) | instskip(NEXT) | instid1(VALU_DEP_3)
	v_lshl_add_u64 v[32:33], v[22:23], 3, v[12:13]
	v_lshl_add_u64 v[34:35], v[24:25], 3, v[16:17]
	v_add_nc_u32_e32 v24, s20, v24
	s_delay_alu instid0(VALU_DEP_4)
	v_cmp_eq_u32_e64 s0, 0, v30
	v_add_nc_u32_e32 v22, s19, v22
	global_load_b64 v[36:37], v[32:33], off
	global_load_b64 v[38:39], v[34:35], off
	s_or_b32 s14, s0, s14
	s_wait_loadcnt 0x0
	v_fmac_f64_e32 v[20:21], v[36:37], v[38:39]
	s_wait_xcnt 0x0
	s_and_not1_b32 exec_lo, exec_lo, s14
	s_cbranch_execnz .LBB4_237
; %bb.238:                              ;   in Loop: Header=BB4_235 Depth=2
	s_or_b32 exec_lo, exec_lo, s14
	s_branch .LBB4_234
.LBB4_239:
	s_or_b32 exec_lo, exec_lo, s1
	s_wait_storecnt_dscnt 0x0
	s_barrier_signal -1
	s_barrier_wait -1
	s_mov_b32 s0, exec_lo
	v_cmpx_lt_i32_e32 1, v6
	s_cbranch_execz .LBB4_247
; %bb.240:
	s_lshl_b32 s1, s19, 8
	s_mov_b32 s2, 0
	s_branch .LBB4_243
.LBB4_241:                              ;   in Loop: Header=BB4_243 Depth=1
	s_wait_storecnt 0x0
	s_barrier_signal -1
	s_barrier_wait -1
.LBB4_242:                              ;   in Loop: Header=BB4_243 Depth=1
	s_or_b32 exec_lo, exec_lo, s0
	v_cmp_gt_u32_e32 vcc_lo, 2, v4
	v_mov_b32_e32 v6, v4
	s_or_b32 s2, vcc_lo, s2
	s_delay_alu instid0(SALU_CYCLE_1)
	s_and_not1_b32 exec_lo, exec_lo, s2
	s_cbranch_execz .LBB4_247
.LBB4_243:                              ; =>This Loop Header: Depth=1
                                        ;     Child Loop BB4_246 Depth 2
	s_delay_alu instid0(VALU_DEP_1)
	v_dual_add_nc_u32 v2, -1, v6 :: v_dual_add_nc_u32 v4, -2, v6
	global_load_b32 v3, v2, s[16:17] scale_offset
	s_wait_loadcnt 0x0
	v_not_b32_e32 v5, v3
	v_cmp_gt_i32_e32 vcc_lo, 0, v3
	v_dual_cndmask_b32 v4, v2, v4 :: v_dual_add_nc_u32 v7, -1, v3
	s_delay_alu instid0(VALU_DEP_1) | instskip(NEXT) | instid1(VALU_DEP_2)
	v_cndmask_b32_e32 v5, v7, v5, vcc_lo
	v_cmp_ne_u32_e64 s0, 0, v4
	s_delay_alu instid0(VALU_DEP_2) | instskip(SKIP_1) | instid1(SALU_CYCLE_1)
	v_cmp_ne_u32_e32 vcc_lo, v5, v2
	s_and_b32 s3, vcc_lo, s0
	s_and_saveexec_b32 s0, s3
	s_cbranch_execz .LBB4_242
; %bb.244:                              ;   in Loop: Header=BB4_243 Depth=1
	v_cmp_lt_i32_e32 vcc_lo, v0, v4
	s_and_b32 exec_lo, exec_lo, vcc_lo
	s_cbranch_execz .LBB4_241
; %bb.245:                              ;   in Loop: Header=BB4_243 Depth=1
	v_dual_mov_b32 v2, v1 :: v_dual_ashrrev_i32 v7, 31, v6
	v_mov_b32_e32 v8, v0
	s_mov_b32 s3, 0
.LBB4_246:                              ;   Parent Loop BB4_243 Depth=1
                                        ; =>  This Inner Loop Header: Depth=2
	s_delay_alu instid0(VALU_DEP_2) | instskip(NEXT) | instid1(VALU_DEP_2)
	v_ashrrev_i32_e32 v3, 31, v2
	v_add_nc_u32_e32 v8, 0x100, v8
	s_delay_alu instid0(VALU_DEP_2) | instskip(SKIP_1) | instid1(VALU_DEP_3)
	v_add_nc_u64_e32 v[10:11], v[2:3], v[6:7]
	v_add_nc_u32_e32 v3, v5, v2
	v_cmp_ge_i32_e32 vcc_lo, v8, v4
	v_add_nc_u32_e32 v2, s1, v2
	s_or_b32 s3, vcc_lo, s3
	s_delay_alu instid0(VALU_DEP_4)
	v_lshl_add_u64 v[10:11], v[10:11], 3, s[8:9]
	s_clause 0x1
	global_load_b64 v[12:13], v3, s[8:9] scale_offset
	global_load_b64 v[14:15], v[10:11], off offset:-8
	s_wait_loadcnt 0x0
	s_clause 0x1
	global_store_b64 v3, v[14:15], s[8:9] scale_offset
	global_store_b64 v[10:11], v[12:13], off offset:-8
	s_wait_xcnt 0x0
	s_and_not1_b32 exec_lo, exec_lo, s3
	s_cbranch_execnz .LBB4_246
	s_branch .LBB4_241
.LBB4_247:
	s_endpgm
.LBB4_248:
	v_mov_b32_e32 v6, 0
	s_and_saveexec_b32 s0, s2
	s_cbranch_execnz .LBB4_217
	s_branch .LBB4_218
	.section	.rodata,"a",@progbits
	.p2align	6, 0x0
	.amdhsa_kernel _ZN9rocsolver6v33100L18lasyf_kernel_lowerIdPdEEviiPiT0_iilS3_lS3_PT_
		.amdhsa_group_segment_fixed_size 3104
		.amdhsa_private_segment_fixed_size 0
		.amdhsa_kernarg_size 72
		.amdhsa_user_sgpr_count 2
		.amdhsa_user_sgpr_dispatch_ptr 0
		.amdhsa_user_sgpr_queue_ptr 0
		.amdhsa_user_sgpr_kernarg_segment_ptr 1
		.amdhsa_user_sgpr_dispatch_id 0
		.amdhsa_user_sgpr_kernarg_preload_length 0
		.amdhsa_user_sgpr_kernarg_preload_offset 0
		.amdhsa_user_sgpr_private_segment_size 0
		.amdhsa_wavefront_size32 1
		.amdhsa_uses_dynamic_stack 0
		.amdhsa_enable_private_segment 0
		.amdhsa_system_sgpr_workgroup_id_x 1
		.amdhsa_system_sgpr_workgroup_id_y 1
		.amdhsa_system_sgpr_workgroup_id_z 0
		.amdhsa_system_sgpr_workgroup_info 0
		.amdhsa_system_vgpr_workitem_id 0
		.amdhsa_next_free_vgpr 48
		.amdhsa_next_free_sgpr 57
		.amdhsa_named_barrier_count 0
		.amdhsa_reserve_vcc 1
		.amdhsa_float_round_mode_32 0
		.amdhsa_float_round_mode_16_64 0
		.amdhsa_float_denorm_mode_32 3
		.amdhsa_float_denorm_mode_16_64 3
		.amdhsa_fp16_overflow 0
		.amdhsa_memory_ordered 1
		.amdhsa_forward_progress 1
		.amdhsa_inst_pref_size 76
		.amdhsa_round_robin_scheduling 0
		.amdhsa_exception_fp_ieee_invalid_op 0
		.amdhsa_exception_fp_denorm_src 0
		.amdhsa_exception_fp_ieee_div_zero 0
		.amdhsa_exception_fp_ieee_overflow 0
		.amdhsa_exception_fp_ieee_underflow 0
		.amdhsa_exception_fp_ieee_inexact 0
		.amdhsa_exception_int_div_zero 0
	.end_amdhsa_kernel
	.section	.text._ZN9rocsolver6v33100L18lasyf_kernel_lowerIdPdEEviiPiT0_iilS3_lS3_PT_,"axG",@progbits,_ZN9rocsolver6v33100L18lasyf_kernel_lowerIdPdEEviiPiT0_iilS3_lS3_PT_,comdat
.Lfunc_end4:
	.size	_ZN9rocsolver6v33100L18lasyf_kernel_lowerIdPdEEviiPiT0_iilS3_lS3_PT_, .Lfunc_end4-_ZN9rocsolver6v33100L18lasyf_kernel_lowerIdPdEEviiPiT0_iilS3_lS3_PT_
                                        ; -- End function
	.set _ZN9rocsolver6v33100L18lasyf_kernel_lowerIdPdEEviiPiT0_iilS3_lS3_PT_.num_vgpr, 48
	.set _ZN9rocsolver6v33100L18lasyf_kernel_lowerIdPdEEviiPiT0_iilS3_lS3_PT_.num_agpr, 0
	.set _ZN9rocsolver6v33100L18lasyf_kernel_lowerIdPdEEviiPiT0_iilS3_lS3_PT_.numbered_sgpr, 57
	.set _ZN9rocsolver6v33100L18lasyf_kernel_lowerIdPdEEviiPiT0_iilS3_lS3_PT_.num_named_barrier, 0
	.set _ZN9rocsolver6v33100L18lasyf_kernel_lowerIdPdEEviiPiT0_iilS3_lS3_PT_.private_seg_size, 0
	.set _ZN9rocsolver6v33100L18lasyf_kernel_lowerIdPdEEviiPiT0_iilS3_lS3_PT_.uses_vcc, 1
	.set _ZN9rocsolver6v33100L18lasyf_kernel_lowerIdPdEEviiPiT0_iilS3_lS3_PT_.uses_flat_scratch, 0
	.set _ZN9rocsolver6v33100L18lasyf_kernel_lowerIdPdEEviiPiT0_iilS3_lS3_PT_.has_dyn_sized_stack, 0
	.set _ZN9rocsolver6v33100L18lasyf_kernel_lowerIdPdEEviiPiT0_iilS3_lS3_PT_.has_recursion, 0
	.set _ZN9rocsolver6v33100L18lasyf_kernel_lowerIdPdEEviiPiT0_iilS3_lS3_PT_.has_indirect_call, 0
	.section	.AMDGPU.csdata,"",@progbits
; Kernel info:
; codeLenInByte = 9636
; TotalNumSgprs: 59
; NumVgprs: 48
; ScratchSize: 0
; MemoryBound: 0
; FloatMode: 240
; IeeeMode: 1
; LDSByteSize: 3104 bytes/workgroup (compile time only)
; SGPRBlocks: 0
; VGPRBlocks: 2
; NumSGPRsForWavesPerEU: 59
; NumVGPRsForWavesPerEU: 48
; NamedBarCnt: 0
; Occupancy: 16
; WaveLimiterHint : 1
; COMPUTE_PGM_RSRC2:SCRATCH_EN: 0
; COMPUTE_PGM_RSRC2:USER_SGPR: 2
; COMPUTE_PGM_RSRC2:TRAP_HANDLER: 0
; COMPUTE_PGM_RSRC2:TGID_X_EN: 1
; COMPUTE_PGM_RSRC2:TGID_Y_EN: 1
; COMPUTE_PGM_RSRC2:TGID_Z_EN: 0
; COMPUTE_PGM_RSRC2:TIDIG_COMP_CNT: 0
	.section	.text._ZN9rocsolver6v33100L18lasyf_kernel_upperI19rocblas_complex_numIfEPS3_EEviiPiT0_iilS5_lS5_PT_,"axG",@progbits,_ZN9rocsolver6v33100L18lasyf_kernel_upperI19rocblas_complex_numIfEPS3_EEviiPiT0_iilS5_lS5_PT_,comdat
	.globl	_ZN9rocsolver6v33100L18lasyf_kernel_upperI19rocblas_complex_numIfEPS3_EEviiPiT0_iilS5_lS5_PT_ ; -- Begin function _ZN9rocsolver6v33100L18lasyf_kernel_upperI19rocblas_complex_numIfEPS3_EEviiPiT0_iilS5_lS5_PT_
	.p2align	8
	.type	_ZN9rocsolver6v33100L18lasyf_kernel_upperI19rocblas_complex_numIfEPS3_EEviiPiT0_iilS5_lS5_PT_,@function
_ZN9rocsolver6v33100L18lasyf_kernel_upperI19rocblas_complex_numIfEPS3_EEviiPiT0_iilS5_lS5_PT_: ; @_ZN9rocsolver6v33100L18lasyf_kernel_upperI19rocblas_complex_numIfEPS3_EEviiPiT0_iilS5_lS5_PT_
; %bb.0:
	v_cmp_eq_u32_e64 s2, 0, v0
	s_and_saveexec_b32 s3, s2
; %bb.1:
	v_mov_b32_e32 v1, 0
	ds_store_b32 v1, v1 offset:2052
; %bb.2:
	s_or_b32 exec_lo, exec_lo, s3
	s_clause 0x4
	s_load_b64 s[16:17], s[0:1], 0x18
	s_load_b64 s[18:19], s[0:1], 0x0
	s_load_b256 s[4:11], s[0:1], 0x20
	s_load_b128 s[12:15], s[0:1], 0x8
	s_load_b64 s[22:23], s[0:1], 0x40
	s_wait_xcnt 0x0
	s_bfe_u32 s0, ttmp6, 0x40010
	s_bfe_u32 s1, ttmp6, 0x40004
	s_add_co_i32 s0, s0, 1
	s_getreg_b32 s3, hwreg(HW_REG_IB_STS2, 6, 4)
	s_mul_i32 s0, ttmp7, s0
	v_dual_lshlrev_b32 v2, 3, v0 :: v_dual_add_nc_u32 v1, 1, v0
	s_add_co_i32 s0, s1, s0
	s_wait_kmcnt 0x0
	s_ashr_i32 s21, s16, 31
	s_cmp_eq_u32 s3, 0
	s_mov_b32 s20, s16
	s_cselect_b32 s30, ttmp7, s0
	s_lshl_b64 s[24:25], s[20:21], 3
	s_ashr_i32 s31, s30, 31
	s_mul_i32 s0, s18, s30
	s_mul_u64 s[4:5], s[4:5], s[30:31]
	s_mul_u64 s[8:9], s[8:9], s[30:31]
	s_lshl_b64 s[26:27], s[4:5], 3
	s_mul_i32 s28, s0, s19
	s_add_co_i32 s16, s18, -1
	s_lshl_b64 s[4:5], s[8:9], 2
	s_add_nc_u64 s[20:21], s[14:15], s[26:27]
	s_ashr_i32 s29, s28, 31
	s_mov_b32 s1, s19
	s_cmp_lt_i32 s16, 0
	s_add_nc_u64 s[8:9], s[6:7], s[4:5]
	s_add_nc_u64 s[20:21], s[20:21], s[24:25]
	s_mov_b32 s34, s16
	s_cbranch_scc1 .LBB5_237
; %bb.3:
	v_dual_mov_b32 v3, 0 :: v_dual_lshlrev_b32 v32, 2, v0
	s_lshl_b64 s[0:1], s[28:29], 3
	v_add_nc_u32_e32 v6, s19, v0
	s_add_nc_u64 s[36:37], s[22:23], s[0:1]
	s_add_nc_u64 s[4:5], s[26:27], s[24:25]
	v_add_nc_u64_e32 v[4:5], s[36:37], v[2:3]
	s_sub_co_i32 s33, s19, s18
	v_subrev_nc_u32_e32 v10, s18, v6
	s_add_co_i32 s61, s19, -1
	s_sub_co_i32 s54, s18, s19
	s_add_nc_u64 s[38:39], s[14:15], s[4:5]
	s_cmp_eq_u32 s19, s18
	v_add_nc_u64_e32 v[6:7], s[38:39], v[2:3]
	v_add_nc_u64_e32 v[8:9], 8, v[4:5]
	s_cselect_b32 s6, -1, 0
	s_ashr_i32 s5, s18, 31
	s_mov_b32 s4, s18
	v_or_b32_e32 v33, 0x400, v32
	v_cmp_gt_u32_e64 s0, 0x80, v0
	v_cmp_gt_u32_e64 s1, 64, v0
	;; [unrolled: 1-line block ×3, first 2 shown]
	v_dual_add_nc_u32 v34, 1, v10 :: v_dual_mov_b32 v10, -1.0
	s_lshl_b64 s[42:43], s[4:5], 3
	s_ashr_i32 s5, s17, 31
	s_mov_b32 s4, s17
	s_add_co_i32 s55, s17, 1
	s_lshl_b32 s56, s18, 1
	s_add_nc_u64 s[40:41], s[36:37], 4
	s_lshl_b64 s[44:45], s[4:5], 3
	s_lshl_b32 s57, s17, 8
	s_lshl_b32 s58, s18, 8
	s_mov_b32 s59, 0
	s_mov_b64 s[46:47], 0xbf800000
	s_xor_b32 s60, s6, -1
	s_mov_b32 s34, s16
	s_branch .LBB5_6
.LBB5_4:                                ;   in Loop: Header=BB5_6 Depth=1
	s_wait_xcnt 0x0
	s_or_b32 exec_lo, exec_lo, s48
	s_add_co_i32 s34, s6, s34
	s_delay_alu instid0(SALU_CYCLE_1)
	s_add_co_i32 s61, s34, s33
	s_cmp_lt_i32 s34, 0
	s_cselect_b32 s4, -1, 0
.LBB5_5:                                ;   in Loop: Header=BB5_6 Depth=1
	s_delay_alu instid0(SALU_CYCLE_1)
	s_and_b32 vcc_lo, exec_lo, s4
	s_cbranch_vccnz .LBB5_236
.LBB5_6:                                ; =>This Loop Header: Depth=1
                                        ;     Child Loop BB5_9 Depth 2
                                        ;     Child Loop BB5_17 Depth 2
                                        ;       Child Loop BB5_19 Depth 3
                                        ;     Child Loop BB5_23 Depth 2
                                        ;     Child Loop BB5_68 Depth 2
                                        ;     Child Loop BB5_71 Depth 2
                                        ;     Child Loop BB5_79 Depth 2
                                        ;       Child Loop BB5_81 Depth 3
                                        ;     Child Loop BB5_86 Depth 2
                                        ;     Child Loop BB5_130 Depth 2
	;; [unrolled: 1-line block ×9, first 2 shown]
	s_cmp_le_i32 s34, s54
	s_cselect_b32 s4, -1, 0
	s_delay_alu instid0(SALU_CYCLE_1) | instskip(NEXT) | instid1(SALU_CYCLE_1)
	s_and_b32 s4, s60, s4
	s_and_b32 vcc_lo, exec_lo, s4
	s_mov_b32 s4, -1
	s_cbranch_vccnz .LBB5_5
; %bb.7:                                ;   in Loop: Header=BB5_6 Depth=1
	v_cmp_ge_i32_e64 s5, s34, v0
	s_and_saveexec_b32 s4, s5
	s_cbranch_execz .LBB5_10
; %bb.8:                                ;   in Loop: Header=BB5_6 Depth=1
	v_mad_u32 v12, s61, s18, v0
	v_mad_u32 v14, s34, s17, v0
	v_mov_b32_e32 v11, v0
	s_mov_b32 s6, 0
	s_delay_alu instid0(VALU_DEP_2) | instskip(NEXT) | instid1(VALU_DEP_1)
	v_dual_ashrrev_i32 v13, 31, v12 :: v_dual_ashrrev_i32 v15, 31, v14
	v_lshl_add_u64 v[12:13], v[12:13], 3, s[36:37]
	s_delay_alu instid0(VALU_DEP_2)
	v_lshl_add_u64 v[14:15], v[14:15], 3, s[38:39]
.LBB5_9:                                ;   Parent Loop BB5_6 Depth=1
                                        ; =>  This Inner Loop Header: Depth=2
	global_load_b64 v[16:17], v[14:15], off
	v_add_nc_u32_e32 v11, 0x100, v11
	s_wait_xcnt 0x0
	v_add_nc_u64_e32 v[14:15], 0x800, v[14:15]
	s_delay_alu instid0(VALU_DEP_2)
	v_cmp_lt_i32_e32 vcc_lo, s34, v11
	s_or_b32 s6, vcc_lo, s6
	s_wait_loadcnt 0x0
	global_store_b64 v[12:13], v[16:17], off
	s_wait_xcnt 0x0
	v_add_nc_u64_e32 v[12:13], 0x800, v[12:13]
	s_and_not1_b32 exec_lo, exec_lo, s6
	s_cbranch_execnz .LBB5_9
.LBB5_10:                               ;   in Loop: Header=BB5_6 Depth=1
	s_or_b32 exec_lo, exec_lo, s4
	s_cmp_ge_i32 s34, s16
	s_mov_b32 s4, -1
	s_cselect_b32 s62, -1, 0
	s_cmp_lt_i32 s34, s16
	s_wait_storecnt_dscnt 0x0
	s_barrier_signal -1
	s_barrier_wait -1
                                        ; implicit-def: $sgpr48
	s_cbranch_scc1 .LBB5_12
; %bb.11:                               ;   in Loop: Header=BB5_6 Depth=1
	s_mul_i32 s48, s61, s18
	s_mov_b32 s4, 0
	s_ashr_i32 s49, s48, 31
.LBB5_12:                               ;   in Loop: Header=BB5_6 Depth=1
	s_and_not1_b32 vcc_lo, exec_lo, s4
	s_cbranch_vccnz .LBB5_21
; %bb.13:                               ;   in Loop: Header=BB5_6 Depth=1
	s_mul_i32 s48, s61, s18
	s_delay_alu instid0(SALU_CYCLE_1)
	s_ashr_i32 s49, s48, 31
	s_and_saveexec_b32 s4, s5
	s_cbranch_execz .LBB5_20
; %bb.14:                               ;   in Loop: Header=BB5_6 Depth=1
	s_not_b32 s6, s34
	s_add_co_i32 s7, s34, 1
	s_add_co_i32 s63, s18, s6
	;; [unrolled: 1-line block ×3, first 2 shown]
	s_mul_i32 s50, s7, s17
	s_mul_i32 s52, s6, s18
	s_ashr_i32 s51, s50, 31
	s_ashr_i32 s53, s52, 31
	s_lshl_b64 s[6:7], s[48:49], 3
	s_mov_b32 s35, s59
	s_cmp_gt_i32 s63, 0
	v_lshl_add_u64 v[12:13], s[50:51], 3, v[6:7]
	s_cselect_b32 s64, -1, 0
	s_lshl_b64 s[52:53], s[52:53], 3
	s_lshl_b64 s[66:67], s[34:35], 3
	v_mov_b32_e32 v11, v0
	s_add_nc_u64 s[50:51], s[52:53], s[66:67]
	s_add_nc_u64 s[6:7], s[36:37], s[6:7]
	s_mov_b32 s35, 0
	s_add_nc_u64 s[50:51], s[40:41], s[50:51]
	s_branch .LBB5_17
.LBB5_15:                               ;   in Loop: Header=BB5_17 Depth=2
	v_mov_b32_e32 v14, 0
.LBB5_16:                               ;   in Loop: Header=BB5_17 Depth=2
	global_load_b64 v[16:17], v11, s[6:7] scale_offset
	v_mov_b32_e32 v20, v15
	v_xor_b32_e32 v18, 0x80000000, v14
	v_mul_f32_e32 v23, 0, v14
	v_add_nc_u64_e32 v[12:13], 0x800, v[12:13]
	s_wait_loadcnt 0x0
	v_dual_mov_b32 v21, v16 :: v_dual_mov_b32 v22, v16
	v_dual_mov_b32 v19, v17 :: v_dual_mul_f32 v14, 0, v17
	s_delay_alu instid0(VALU_DEP_2) | instskip(NEXT) | instid1(VALU_DEP_2)
	v_pk_fma_f32 v[16:17], v[20:21], 0, v[16:17] op_sel_hi:[1,0,1]
	v_pk_fma_f32 v[18:19], v[20:21], 0, v[18:19] op_sel_hi:[1,0,1] neg_lo:[1,0,0] neg_hi:[1,0,0]
	s_delay_alu instid0(VALU_DEP_3) | instskip(NEXT) | instid1(VALU_DEP_3)
	v_pk_add_f32 v[14:15], v[22:23], v[14:15] neg_lo:[0,1] neg_hi:[0,1]
	v_mov_b32_e32 v19, v17
	s_delay_alu instid0(VALU_DEP_1) | instskip(SKIP_3) | instid1(VALU_DEP_1)
	v_pk_add_f32 v[14:15], v[18:19], v[14:15]
	global_store_b64 v11, v[14:15], s[6:7] scale_offset
	s_wait_xcnt 0x0
	v_add_nc_u32_e32 v11, 0x100, v11
	v_cmp_lt_i32_e32 vcc_lo, s34, v11
	s_or_b32 s35, vcc_lo, s35
	s_delay_alu instid0(SALU_CYCLE_1)
	s_and_not1_b32 exec_lo, exec_lo, s35
	s_cbranch_execz .LBB5_20
.LBB5_17:                               ;   Parent Loop BB5_6 Depth=1
                                        ; =>  This Loop Header: Depth=2
                                        ;       Child Loop BB5_19 Depth 3
	v_mov_b32_e32 v15, 0
	s_and_not1_b32 vcc_lo, exec_lo, s64
	s_cbranch_vccnz .LBB5_15
; %bb.18:                               ;   in Loop: Header=BB5_17 Depth=2
	v_mov_b64_e32 v[16:17], v[12:13]
	v_mov_b32_e32 v14, 0
	s_mov_b64 s[52:53], s[50:51]
	s_mov_b32 s65, s63
.LBB5_19:                               ;   Parent Loop BB5_6 Depth=1
                                        ;     Parent Loop BB5_17 Depth=2
                                        ; =>    This Inner Loop Header: Depth=3
	global_load_b64 v[18:19], v[16:17], off
	global_load_b64 v[20:21], v3, s[52:53] offset:-4
	s_wait_xcnt 0x1
	v_add_nc_u64_e32 v[16:17], s[44:45], v[16:17]
	s_add_co_i32 s65, s65, -1
	s_wait_xcnt 0x0
	s_add_nc_u64 s[52:53], s[52:53], s[42:43]
	s_cmp_eq_u32 s65, 0
	s_wait_loadcnt 0x0
	v_dual_mul_f32 v22, v21, v19 :: v_dual_mul_f32 v19, v20, v19
	s_delay_alu instid0(VALU_DEP_1) | instskip(NEXT) | instid1(VALU_DEP_1)
	v_dual_fma_f32 v20, v20, v18, -v22 :: v_dual_fmac_f32 v19, v21, v18
	v_dual_add_f32 v14, v14, v20 :: v_dual_add_f32 v15, v15, v19
	s_cbranch_scc0 .LBB5_19
	s_branch .LBB5_16
.LBB5_20:                               ;   in Loop: Header=BB5_6 Depth=1
	s_or_b32 exec_lo, exec_lo, s4
	s_wait_storecnt 0x0
	s_barrier_signal -1
	s_barrier_wait -1
.LBB5_21:                               ;   in Loop: Header=BB5_6 Depth=1
	v_cmp_gt_i32_e64 s4, s34, v0
	v_bfrev_b32_e32 v11, -2
	v_mov_b32_e32 v14, 0
	s_and_saveexec_b32 s35, s4
	s_cbranch_execz .LBB5_25
; %bb.22:                               ;   in Loop: Header=BB5_6 Depth=1
	v_lshl_add_u64 v[12:13], s[48:49], 3, v[4:5]
	v_bfrev_b32_e32 v11, -2
	v_dual_mov_b32 v14, 0 :: v_dual_mov_b32 v15, v0
	s_mov_b32 s49, 0
.LBB5_23:                               ;   Parent Loop BB5_6 Depth=1
                                        ; =>  This Inner Loop Header: Depth=2
	global_load_b64 v[16:17], v[12:13], off
	s_wait_xcnt 0x0
	v_add_nc_u64_e32 v[12:13], 0x800, v[12:13]
	s_wait_loadcnt 0x0
	v_cmp_gt_f32_e32 vcc_lo, 0, v17
	v_cndmask_b32_e64 v17, v17, -v17, vcc_lo
	v_cmp_gt_f32_e32 vcc_lo, 0, v16
	v_cndmask_b32_e64 v16, v16, -v16, vcc_lo
	v_cmp_eq_u32_e32 vcc_lo, 0x7fffffff, v11
	s_delay_alu instid0(VALU_DEP_2) | instskip(NEXT) | instid1(VALU_DEP_1)
	v_dual_add_f32 v16, v16, v17 :: v_dual_add_nc_u32 v17, 1, v15
	v_cmp_lt_f32_e64 s6, v14, v16
	s_or_b32 vcc_lo, s6, vcc_lo
	v_dual_cndmask_b32 v14, v14, v16 :: v_dual_add_nc_u32 v15, 0x100, v15
	v_cndmask_b32_e32 v11, v11, v17, vcc_lo
	s_delay_alu instid0(VALU_DEP_2) | instskip(SKIP_1) | instid1(SALU_CYCLE_1)
	v_cmp_le_i32_e64 s7, s34, v15
	s_or_b32 s49, s7, s49
	s_and_not1_b32 exec_lo, exec_lo, s49
	s_cbranch_execnz .LBB5_23
; %bb.24:                               ;   in Loop: Header=BB5_6 Depth=1
	s_or_b32 exec_lo, exec_lo, s49
.LBB5_25:                               ;   in Loop: Header=BB5_6 Depth=1
	s_delay_alu instid0(SALU_CYCLE_1)
	s_or_b32 exec_lo, exec_lo, s35
	s_cmp_lt_i32 s34, 2
	ds_store_b32 v33, v14
	ds_store_b32 v32, v11
	s_wait_dscnt 0x0
	s_barrier_signal -1
	s_barrier_wait -1
	s_cbranch_scc1 .LBB5_62
; %bb.26:                               ;   in Loop: Header=BB5_6 Depth=1
	s_and_saveexec_b32 s7, s0
	s_cbranch_execz .LBB5_32
; %bb.27:                               ;   in Loop: Header=BB5_6 Depth=1
	ds_load_b32 v12, v33 offset:512
	ds_load_b32 v13, v32 offset:512
	s_mov_b32 s49, exec_lo
	s_wait_dscnt 0x1
	v_cmp_lt_f32_e64 s35, v14, v12
	v_cmpx_nlt_f32_e32 v14, v12
	s_cbranch_execz .LBB5_29
; %bb.28:                               ;   in Loop: Header=BB5_6 Depth=1
	v_cmp_eq_f32_e32 vcc_lo, v14, v12
	s_wait_dscnt 0x0
	v_cmp_gt_i32_e64 s6, v11, v13
	s_and_not1_b32 s35, s35, exec_lo
	s_and_b32 s6, vcc_lo, s6
	s_delay_alu instid0(SALU_CYCLE_1) | instskip(NEXT) | instid1(SALU_CYCLE_1)
	s_and_b32 s6, s6, exec_lo
	s_or_b32 s35, s35, s6
.LBB5_29:                               ;   in Loop: Header=BB5_6 Depth=1
	s_or_b32 exec_lo, exec_lo, s49
	s_and_saveexec_b32 s6, s35
	s_cbranch_execz .LBB5_31
; %bb.30:                               ;   in Loop: Header=BB5_6 Depth=1
	s_wait_dscnt 0x0
	v_dual_mov_b32 v14, v12 :: v_dual_mov_b32 v11, v13
	ds_store_b32 v33, v12
	ds_store_b32 v32, v13
.LBB5_31:                               ;   in Loop: Header=BB5_6 Depth=1
	s_or_b32 exec_lo, exec_lo, s6
.LBB5_32:                               ;   in Loop: Header=BB5_6 Depth=1
	s_delay_alu instid0(SALU_CYCLE_1)
	s_or_b32 exec_lo, exec_lo, s7
	s_wait_dscnt 0x0
	s_barrier_signal -1
	s_barrier_wait -1
	s_and_saveexec_b32 s7, s1
	s_cbranch_execz .LBB5_38
; %bb.33:                               ;   in Loop: Header=BB5_6 Depth=1
	ds_load_b32 v12, v33 offset:256
	ds_load_b32 v13, v32 offset:256
	s_mov_b32 s49, exec_lo
	s_wait_dscnt 0x1
	v_cmp_lt_f32_e64 s35, v14, v12
	v_cmpx_nlt_f32_e32 v14, v12
	s_cbranch_execz .LBB5_35
; %bb.34:                               ;   in Loop: Header=BB5_6 Depth=1
	v_cmp_eq_f32_e32 vcc_lo, v14, v12
	s_wait_dscnt 0x0
	v_cmp_gt_i32_e64 s6, v11, v13
	s_and_not1_b32 s35, s35, exec_lo
	s_and_b32 s6, vcc_lo, s6
	s_delay_alu instid0(SALU_CYCLE_1) | instskip(NEXT) | instid1(SALU_CYCLE_1)
	s_and_b32 s6, s6, exec_lo
	s_or_b32 s35, s35, s6
.LBB5_35:                               ;   in Loop: Header=BB5_6 Depth=1
	s_or_b32 exec_lo, exec_lo, s49
	s_and_saveexec_b32 s6, s35
	s_cbranch_execz .LBB5_37
; %bb.36:                               ;   in Loop: Header=BB5_6 Depth=1
	s_wait_dscnt 0x0
	v_dual_mov_b32 v14, v12 :: v_dual_mov_b32 v11, v13
	ds_store_b32 v33, v12
	ds_store_b32 v32, v13
.LBB5_37:                               ;   in Loop: Header=BB5_6 Depth=1
	s_or_b32 exec_lo, exec_lo, s6
.LBB5_38:                               ;   in Loop: Header=BB5_6 Depth=1
	s_delay_alu instid0(SALU_CYCLE_1)
	s_or_b32 exec_lo, exec_lo, s7
	s_wait_dscnt 0x0
	s_barrier_signal -1
	s_barrier_wait -1
	s_and_saveexec_b32 s35, s3
	s_cbranch_execz .LBB5_61
; %bb.39:                               ;   in Loop: Header=BB5_6 Depth=1
	ds_load_b32 v12, v33 offset:128
	ds_load_b32 v13, v32 offset:128
	s_mov_b32 s49, exec_lo
	s_wait_dscnt 0x1
	v_cmp_lt_f32_e64 s7, v14, v12
	v_cmpx_nlt_f32_e32 v14, v12
	s_cbranch_execz .LBB5_41
; %bb.40:                               ;   in Loop: Header=BB5_6 Depth=1
	v_cmp_eq_f32_e32 vcc_lo, v14, v12
	s_wait_dscnt 0x0
	v_cmp_gt_i32_e64 s6, v11, v13
	s_and_not1_b32 s7, s7, exec_lo
	s_and_b32 s6, vcc_lo, s6
	s_delay_alu instid0(SALU_CYCLE_1) | instskip(NEXT) | instid1(SALU_CYCLE_1)
	s_and_b32 s6, s6, exec_lo
	s_or_b32 s7, s7, s6
.LBB5_41:                               ;   in Loop: Header=BB5_6 Depth=1
	s_or_b32 exec_lo, exec_lo, s49
	s_and_saveexec_b32 s6, s7
	s_cbranch_execz .LBB5_43
; %bb.42:                               ;   in Loop: Header=BB5_6 Depth=1
	s_wait_dscnt 0x0
	v_dual_mov_b32 v11, v13 :: v_dual_mov_b32 v14, v12
	ds_store_b32 v33, v12
	ds_store_b32 v32, v13
.LBB5_43:                               ;   in Loop: Header=BB5_6 Depth=1
	s_or_b32 exec_lo, exec_lo, s6
	ds_load_b32 v12, v33 offset:64
	s_wait_dscnt 0x1
	ds_load_b32 v13, v32 offset:64
	s_mov_b32 s49, exec_lo
	s_wait_dscnt 0x1
	v_cmp_lt_f32_e64 s7, v14, v12
	v_cmpx_nlt_f32_e32 v14, v12
	s_cbranch_execz .LBB5_45
; %bb.44:                               ;   in Loop: Header=BB5_6 Depth=1
	v_cmp_eq_f32_e32 vcc_lo, v14, v12
	s_wait_dscnt 0x0
	v_cmp_gt_i32_e64 s6, v11, v13
	s_and_not1_b32 s7, s7, exec_lo
	s_and_b32 s6, vcc_lo, s6
	s_delay_alu instid0(SALU_CYCLE_1) | instskip(NEXT) | instid1(SALU_CYCLE_1)
	s_and_b32 s6, s6, exec_lo
	s_or_b32 s7, s7, s6
.LBB5_45:                               ;   in Loop: Header=BB5_6 Depth=1
	s_or_b32 exec_lo, exec_lo, s49
	s_and_saveexec_b32 s6, s7
	s_cbranch_execz .LBB5_47
; %bb.46:                               ;   in Loop: Header=BB5_6 Depth=1
	s_wait_dscnt 0x0
	v_dual_mov_b32 v11, v13 :: v_dual_mov_b32 v14, v12
	ds_store_b32 v33, v12
	ds_store_b32 v32, v13
.LBB5_47:                               ;   in Loop: Header=BB5_6 Depth=1
	s_or_b32 exec_lo, exec_lo, s6
	ds_load_b32 v12, v33 offset:32
	s_wait_dscnt 0x1
	;; [unrolled: 28-line block ×5, first 2 shown]
	ds_load_b32 v13, v32 offset:4
	s_wait_dscnt 0x1
	v_cmp_eq_f32_e32 vcc_lo, v14, v12
	s_wait_dscnt 0x0
	v_cmp_gt_i32_e64 s6, v11, v13
	v_cmp_lt_f32_e64 s7, v14, v12
	s_and_b32 s6, vcc_lo, s6
	s_delay_alu instid0(SALU_CYCLE_1) | instskip(NEXT) | instid1(SALU_CYCLE_1)
	s_or_b32 s6, s7, s6
	s_and_b32 exec_lo, exec_lo, s6
	s_cbranch_execz .LBB5_61
; %bb.60:                               ;   in Loop: Header=BB5_6 Depth=1
	ds_store_b32 v33, v12
	ds_store_b32 v32, v13
.LBB5_61:                               ;   in Loop: Header=BB5_6 Depth=1
	s_or_b32 exec_lo, exec_lo, s35
.LBB5_62:                               ;   in Loop: Header=BB5_6 Depth=1
	s_and_saveexec_b32 s6, s2
	s_cbranch_execz .LBB5_64
; %bb.63:                               ;   in Loop: Header=BB5_6 Depth=1
	s_add_co_i32 s7, s48, s34
	ds_load_2addr_stride64_b32 v[14:15], v3 offset1:4
	v_mov_b32_e32 v11, s7
	global_load_b64 v[12:13], v11, s[36:37] scale_offset
	s_wait_loadcnt 0x0
	v_xor_b32_e32 v11, 0x80000000, v13
	v_cmp_gt_f32_e32 vcc_lo, 0, v13
	v_xor_b32_e32 v16, 0x80000000, v12
	s_wait_dscnt 0x0
	s_delay_alu instid0(VALU_DEP_3) | instskip(SKIP_1) | instid1(VALU_DEP_3)
	v_dual_cndmask_b32 v11, v13, v11, vcc_lo :: v_dual_add_nc_u32 v13, -1, v14
	v_cmp_gt_f32_e32 vcc_lo, 0, v12
	v_cndmask_b32_e32 v12, v12, v16, vcc_lo
	s_delay_alu instid0(VALU_DEP_1)
	v_add_f32_e32 v14, v12, v11
	ds_store_b32 v3, v13 offset:2048
	ds_store_b64 v3, v[14:15] offset:2056
.LBB5_64:                               ;   in Loop: Header=BB5_6 Depth=1
	s_or_b32 exec_lo, exec_lo, s6
	s_wait_dscnt 0x0
	s_barrier_signal -1
	s_barrier_wait -1
	ds_load_b64 v[12:13], v3 offset:2056
	s_wait_dscnt 0x0
	v_readfirstlane_b32 s6, v12
	v_readfirstlane_b32 s7, v13
	s_cmp_lt_f32 s6, s7
	s_cselect_b32 s35, s7, s6
	s_delay_alu instid0(SALU_CYCLE_1)
	s_cmp_neq_f32 s35, 0
	s_cbranch_scc0 .LBB5_82
; %bb.65:                               ;   in Loop: Header=BB5_6 Depth=1
	s_mul_f32 s7, s7, 0x3f23f07b
	s_delay_alu instid0(SALU_CYCLE_3)
	s_cmp_ge_f32 s6, s7
	s_cbranch_scc1 .LBB5_178
; %bb.66:                               ;   in Loop: Header=BB5_6 Depth=1
	ds_load_b32 v11, v3 offset:2048
	s_mov_b32 s6, exec_lo
	s_wait_dscnt 0x0
	v_cmpx_le_i32_e64 v0, v11
	s_cbranch_execz .LBB5_69
; %bb.67:                               ;   in Loop: Header=BB5_6 Depth=1
	s_add_co_i32 s7, s61, -1
	v_mad_u32 v12, v11, s17, v0
	v_mad_u32 v14, s7, s18, v0
	v_mov_b32_e32 v16, v0
	s_mov_b32 s7, 0
	s_delay_alu instid0(VALU_DEP_2) | instskip(NEXT) | instid1(VALU_DEP_1)
	v_dual_ashrrev_i32 v13, 31, v12 :: v_dual_ashrrev_i32 v15, 31, v14
	v_lshl_add_u64 v[12:13], v[12:13], 3, s[38:39]
	s_delay_alu instid0(VALU_DEP_2)
	v_lshl_add_u64 v[14:15], v[14:15], 3, s[36:37]
.LBB5_68:                               ;   Parent Loop BB5_6 Depth=1
                                        ; =>  This Inner Loop Header: Depth=2
	global_load_b64 v[18:19], v[12:13], off
	v_add_nc_u32_e32 v16, 0x100, v16
	s_wait_xcnt 0x0
	v_add_nc_u64_e32 v[12:13], 0x800, v[12:13]
	s_delay_alu instid0(VALU_DEP_2)
	v_cmp_gt_i32_e32 vcc_lo, v16, v11
	s_or_b32 s7, vcc_lo, s7
	s_wait_loadcnt 0x0
	global_store_b64 v[14:15], v[18:19], off
	s_wait_xcnt 0x0
	v_add_nc_u64_e32 v[14:15], 0x800, v[14:15]
	s_and_not1_b32 exec_lo, exec_lo, s7
	s_cbranch_execnz .LBB5_68
.LBB5_69:                               ;   in Loop: Header=BB5_6 Depth=1
	s_or_b32 exec_lo, exec_lo, s6
	v_sub_nc_u32_e32 v12, s34, v11
	s_mov_b32 s6, exec_lo
	s_delay_alu instid0(VALU_DEP_1)
	v_cmpx_lt_i32_e64 v0, v12
	s_cbranch_execz .LBB5_72
; %bb.70:                               ;   in Loop: Header=BB5_6 Depth=1
	s_add_co_i32 s7, s61, -1
	s_delay_alu instid0(SALU_CYCLE_1) | instskip(NEXT) | instid1(SALU_CYCLE_1)
	s_mul_i32 s7, s7, s18
	v_dual_add_nc_u32 v13, v1, v11 :: v_dual_add_nc_u32 v14, s7, v11
	s_mov_b32 s7, 0
	s_delay_alu instid0(VALU_DEP_1) | instskip(NEXT) | instid1(VALU_DEP_2)
	v_mad_u32 v11, s17, v13, v11
	v_dual_mov_b32 v14, v0 :: v_dual_add_nc_u32 v13, 1, v14
.LBB5_71:                               ;   Parent Loop BB5_6 Depth=1
                                        ; =>  This Inner Loop Header: Depth=2
	global_load_b64 v[16:17], v11, s[20:21] scale_offset
	s_wait_xcnt 0x0
	v_dual_add_nc_u32 v15, v13, v14 :: v_dual_add_nc_u32 v11, s57, v11
	v_add_nc_u32_e32 v14, 0x100, v14
	s_delay_alu instid0(VALU_DEP_1)
	v_cmp_ge_i32_e32 vcc_lo, v14, v12
	s_or_b32 s7, vcc_lo, s7
	s_wait_loadcnt 0x0
	global_store_b64 v15, v[16:17], s[36:37] scale_offset
	s_wait_xcnt 0x0
	s_and_not1_b32 exec_lo, exec_lo, s7
	s_cbranch_execnz .LBB5_71
.LBB5_72:                               ;   in Loop: Header=BB5_6 Depth=1
	s_or_b32 exec_lo, exec_lo, s6
	s_delay_alu instid0(SALU_CYCLE_1)
	s_and_not1_b32 vcc_lo, exec_lo, s62
	s_mov_b32 s6, -1
	s_wait_storecnt 0x0
	s_barrier_signal -1
	s_barrier_wait -1
                                        ; implicit-def: $sgpr50
	s_cbranch_vccnz .LBB5_74
; %bb.73:                               ;   in Loop: Header=BB5_6 Depth=1
	s_add_co_i32 s6, s61, -1
	s_delay_alu instid0(SALU_CYCLE_1)
	s_mul_i32 s50, s6, s18
	s_mov_b32 s6, 0
	s_ashr_i32 s51, s50, 31
.LBB5_74:                               ;   in Loop: Header=BB5_6 Depth=1
	s_and_not1_b32 vcc_lo, exec_lo, s6
	s_cbranch_vccnz .LBB5_84
; %bb.75:                               ;   in Loop: Header=BB5_6 Depth=1
	s_add_co_i32 s6, s61, 1
	s_delay_alu instid0(SALU_CYCLE_1) | instskip(NEXT) | instid1(SALU_CYCLE_1)
	s_mul_i32 s6, s6, s18
	s_sub_co_i32 s50, s6, s56
	s_delay_alu instid0(SALU_CYCLE_1)
	s_ashr_i32 s51, s50, 31
	s_and_saveexec_b32 s35, s5
	s_cbranch_execz .LBB5_83
; %bb.76:                               ;   in Loop: Header=BB5_6 Depth=1
	ds_load_b32 v12, v3 offset:2048
	s_add_co_i32 s7, s34, 1
	s_not_b32 s49, s34
	s_mul_i32 s62, s7, s17
	s_add_co_i32 s49, s18, s49
	s_ashr_i32 s63, s62, 31
	s_ashr_i32 s7, s6, 31
	s_lshl_b64 s[64:65], s[50:51], 3
	s_cmp_gt_i32 s49, 0
	v_lshl_add_u64 v[14:15], s[62:63], 3, v[6:7]
	s_cselect_b32 s52, -1, 0
	s_lshl_b64 s[6:7], s[6:7], 3
	s_mov_b32 s53, 0
	s_wait_dscnt 0x0
	v_dual_mov_b32 v11, v0 :: v_dual_ashrrev_i32 v13, 31, v12
	s_delay_alu instid0(VALU_DEP_1) | instskip(NEXT) | instid1(VALU_DEP_1)
	v_lshlrev_b64_e32 v[12:13], 3, v[12:13]
	v_add_nc_u64_e32 v[12:13], s[6:7], v[12:13]
	s_add_nc_u64 s[6:7], s[36:37], s[64:65]
	s_delay_alu instid0(VALU_DEP_1)
	v_add_nc_u64_e32 v[12:13], s[40:41], v[12:13]
	s_branch .LBB5_79
.LBB5_77:                               ;   in Loop: Header=BB5_79 Depth=2
	v_mov_b32_e32 v16, 0
.LBB5_78:                               ;   in Loop: Header=BB5_79 Depth=2
	global_load_b64 v[18:19], v11, s[6:7] scale_offset
	v_mov_b32_e32 v22, v17
	v_xor_b32_e32 v20, 0x80000000, v16
	v_mul_f32_e32 v25, 0, v16
	v_add_nc_u64_e32 v[14:15], 0x800, v[14:15]
	s_wait_loadcnt 0x0
	v_dual_mov_b32 v23, v18 :: v_dual_mov_b32 v24, v18
	v_dual_mov_b32 v21, v19 :: v_dual_mul_f32 v16, 0, v19
	s_delay_alu instid0(VALU_DEP_2) | instskip(NEXT) | instid1(VALU_DEP_2)
	v_pk_fma_f32 v[18:19], v[22:23], 0, v[18:19] op_sel_hi:[1,0,1]
	v_pk_fma_f32 v[20:21], v[22:23], 0, v[20:21] op_sel_hi:[1,0,1] neg_lo:[1,0,0] neg_hi:[1,0,0]
	s_delay_alu instid0(VALU_DEP_3) | instskip(NEXT) | instid1(VALU_DEP_3)
	v_pk_add_f32 v[16:17], v[24:25], v[16:17] neg_lo:[0,1] neg_hi:[0,1]
	v_mov_b32_e32 v21, v19
	s_delay_alu instid0(VALU_DEP_1) | instskip(SKIP_3) | instid1(VALU_DEP_1)
	v_pk_add_f32 v[16:17], v[20:21], v[16:17]
	global_store_b64 v11, v[16:17], s[6:7] scale_offset
	s_wait_xcnt 0x0
	v_add_nc_u32_e32 v11, 0x100, v11
	v_cmp_lt_i32_e32 vcc_lo, s34, v11
	s_or_b32 s53, vcc_lo, s53
	s_delay_alu instid0(SALU_CYCLE_1)
	s_and_not1_b32 exec_lo, exec_lo, s53
	s_cbranch_execz .LBB5_83
.LBB5_79:                               ;   Parent Loop BB5_6 Depth=1
                                        ; =>  This Loop Header: Depth=2
                                        ;       Child Loop BB5_81 Depth 3
	v_mov_b32_e32 v17, 0
	s_and_not1_b32 vcc_lo, exec_lo, s52
	s_cbranch_vccnz .LBB5_77
; %bb.80:                               ;   in Loop: Header=BB5_79 Depth=2
	v_mov_b64_e32 v[18:19], v[14:15]
	s_delay_alu instid0(VALU_DEP_3)
	v_mov_b64_e32 v[20:21], v[12:13]
	v_mov_b32_e32 v16, 0
	s_mov_b32 s62, s49
.LBB5_81:                               ;   Parent Loop BB5_6 Depth=1
                                        ;     Parent Loop BB5_79 Depth=2
                                        ; =>    This Inner Loop Header: Depth=3
	global_load_b64 v[22:23], v[18:19], off
	global_load_b64 v[24:25], v[20:21], off offset:-4
	s_wait_xcnt 0x0
	v_add_nc_u64_e32 v[20:21], s[42:43], v[20:21]
	v_add_nc_u64_e32 v[18:19], s[44:45], v[18:19]
	s_add_co_i32 s62, s62, -1
	s_delay_alu instid0(SALU_CYCLE_1) | instskip(SKIP_2) | instid1(VALU_DEP_1)
	s_cmp_eq_u32 s62, 0
	s_wait_loadcnt 0x0
	v_dual_mul_f32 v26, v25, v23 :: v_dual_mul_f32 v23, v24, v23
	v_dual_fma_f32 v24, v24, v22, -v26 :: v_dual_fmac_f32 v23, v25, v22
	s_delay_alu instid0(VALU_DEP_1)
	v_dual_add_f32 v16, v16, v24 :: v_dual_add_f32 v17, v17, v23
	s_cbranch_scc0 .LBB5_81
	s_branch .LBB5_78
.LBB5_82:                               ;   in Loop: Header=BB5_6 Depth=1
	s_mov_b32 s5, -1
                                        ; implicit-def: $sgpr51
                                        ; implicit-def: $sgpr6
                                        ; implicit-def: $sgpr7
	s_branch .LBB5_227
.LBB5_83:                               ;   in Loop: Header=BB5_6 Depth=1
	s_or_b32 exec_lo, exec_lo, s35
	s_wait_storecnt 0x0
	s_barrier_signal -1
	s_barrier_wait -1
.LBB5_84:                               ;   in Loop: Header=BB5_6 Depth=1
	ds_load_b32 v12, v3 offset:2048
	v_bfrev_b32_e32 v11, -2
	s_mov_b32 s35, exec_lo
	s_wait_dscnt 0x0
	v_dual_mov_b32 v14, 0 :: v_dual_sub_nc_u32 v15, s34, v12
	s_delay_alu instid0(VALU_DEP_1)
	v_cmpx_lt_i32_e64 v0, v15
	s_cbranch_execz .LBB5_88
; %bb.85:                               ;   in Loop: Header=BB5_6 Depth=1
	v_dual_mov_b32 v14, 0 :: v_dual_ashrrev_i32 v13, 31, v12
	s_lshl_b64 s[6:7], s[50:51], 3
	v_bfrev_b32_e32 v11, -2
	v_mov_b32_e32 v16, v0
	s_delay_alu instid0(VALU_DEP_3) | instskip(SKIP_1) | instid1(VALU_DEP_1)
	v_lshlrev_b64_e32 v[12:13], 3, v[12:13]
	s_mov_b32 s49, 0
	v_add_nc_u64_e32 v[12:13], s[6:7], v[12:13]
	s_delay_alu instid0(VALU_DEP_1)
	v_add_nc_u64_e32 v[12:13], v[8:9], v[12:13]
.LBB5_86:                               ;   Parent Loop BB5_6 Depth=1
                                        ; =>  This Inner Loop Header: Depth=2
	global_load_b64 v[18:19], v[12:13], off
	s_wait_xcnt 0x0
	v_add_nc_u64_e32 v[12:13], 0x800, v[12:13]
	s_wait_loadcnt 0x0
	v_cmp_gt_f32_e32 vcc_lo, 0, v19
	v_cndmask_b32_e64 v17, v19, -v19, vcc_lo
	v_cmp_gt_f32_e32 vcc_lo, 0, v18
	v_cndmask_b32_e64 v18, v18, -v18, vcc_lo
	v_cmp_eq_u32_e32 vcc_lo, 0x7fffffff, v11
	s_delay_alu instid0(VALU_DEP_2) | instskip(NEXT) | instid1(VALU_DEP_1)
	v_dual_add_f32 v17, v18, v17 :: v_dual_add_nc_u32 v18, 1, v16
	v_cmp_lt_f32_e64 s6, v14, v17
	s_or_b32 vcc_lo, s6, vcc_lo
	v_dual_cndmask_b32 v11, v11, v18 :: v_dual_add_nc_u32 v16, 0x100, v16
	v_cndmask_b32_e32 v14, v14, v17, vcc_lo
	s_delay_alu instid0(VALU_DEP_2) | instskip(SKIP_1) | instid1(SALU_CYCLE_1)
	v_cmp_ge_i32_e64 s7, v16, v15
	s_or_b32 s49, s7, s49
	s_and_not1_b32 exec_lo, exec_lo, s49
	s_cbranch_execnz .LBB5_86
; %bb.87:                               ;   in Loop: Header=BB5_6 Depth=1
	s_or_b32 exec_lo, exec_lo, s49
.LBB5_88:                               ;   in Loop: Header=BB5_6 Depth=1
	s_delay_alu instid0(SALU_CYCLE_1)
	s_or_b32 exec_lo, exec_lo, s35
	v_cmp_gt_i32_e32 vcc_lo, 2, v15
	ds_store_b32 v33, v14
	ds_store_b32 v32, v11
	s_wait_dscnt 0x0
	s_barrier_signal -1
	s_barrier_wait -1
	s_cbranch_vccnz .LBB5_125
; %bb.89:                               ;   in Loop: Header=BB5_6 Depth=1
	s_and_saveexec_b32 s7, s0
	s_cbranch_execz .LBB5_95
; %bb.90:                               ;   in Loop: Header=BB5_6 Depth=1
	ds_load_b32 v12, v33 offset:512
	ds_load_b32 v13, v32 offset:512
	s_mov_b32 s49, exec_lo
	s_wait_dscnt 0x1
	v_cmp_lt_f32_e64 s35, v14, v12
	v_cmpx_nlt_f32_e32 v14, v12
	s_cbranch_execz .LBB5_92
; %bb.91:                               ;   in Loop: Header=BB5_6 Depth=1
	v_cmp_eq_f32_e32 vcc_lo, v14, v12
	s_wait_dscnt 0x0
	v_cmp_gt_i32_e64 s6, v11, v13
	s_and_not1_b32 s35, s35, exec_lo
	s_and_b32 s6, vcc_lo, s6
	s_delay_alu instid0(SALU_CYCLE_1) | instskip(NEXT) | instid1(SALU_CYCLE_1)
	s_and_b32 s6, s6, exec_lo
	s_or_b32 s35, s35, s6
.LBB5_92:                               ;   in Loop: Header=BB5_6 Depth=1
	s_or_b32 exec_lo, exec_lo, s49
	s_and_saveexec_b32 s6, s35
	s_cbranch_execz .LBB5_94
; %bb.93:                               ;   in Loop: Header=BB5_6 Depth=1
	s_wait_dscnt 0x0
	v_dual_mov_b32 v14, v12 :: v_dual_mov_b32 v11, v13
	ds_store_b32 v33, v12
	ds_store_b32 v32, v13
.LBB5_94:                               ;   in Loop: Header=BB5_6 Depth=1
	s_or_b32 exec_lo, exec_lo, s6
.LBB5_95:                               ;   in Loop: Header=BB5_6 Depth=1
	s_delay_alu instid0(SALU_CYCLE_1)
	s_or_b32 exec_lo, exec_lo, s7
	s_wait_dscnt 0x0
	s_barrier_signal -1
	s_barrier_wait -1
	s_and_saveexec_b32 s7, s1
	s_cbranch_execz .LBB5_101
; %bb.96:                               ;   in Loop: Header=BB5_6 Depth=1
	ds_load_b32 v12, v33 offset:256
	ds_load_b32 v13, v32 offset:256
	s_mov_b32 s49, exec_lo
	s_wait_dscnt 0x1
	v_cmp_lt_f32_e64 s35, v14, v12
	v_cmpx_nlt_f32_e32 v14, v12
	s_cbranch_execz .LBB5_98
; %bb.97:                               ;   in Loop: Header=BB5_6 Depth=1
	v_cmp_eq_f32_e32 vcc_lo, v14, v12
	s_wait_dscnt 0x0
	v_cmp_gt_i32_e64 s6, v11, v13
	s_and_not1_b32 s35, s35, exec_lo
	s_and_b32 s6, vcc_lo, s6
	s_delay_alu instid0(SALU_CYCLE_1) | instskip(NEXT) | instid1(SALU_CYCLE_1)
	s_and_b32 s6, s6, exec_lo
	s_or_b32 s35, s35, s6
.LBB5_98:                               ;   in Loop: Header=BB5_6 Depth=1
	s_or_b32 exec_lo, exec_lo, s49
	s_and_saveexec_b32 s6, s35
	s_cbranch_execz .LBB5_100
; %bb.99:                               ;   in Loop: Header=BB5_6 Depth=1
	s_wait_dscnt 0x0
	v_dual_mov_b32 v14, v12 :: v_dual_mov_b32 v11, v13
	ds_store_b32 v33, v12
	ds_store_b32 v32, v13
.LBB5_100:                              ;   in Loop: Header=BB5_6 Depth=1
	s_or_b32 exec_lo, exec_lo, s6
.LBB5_101:                              ;   in Loop: Header=BB5_6 Depth=1
	s_delay_alu instid0(SALU_CYCLE_1)
	s_or_b32 exec_lo, exec_lo, s7
	s_wait_dscnt 0x0
	s_barrier_signal -1
	s_barrier_wait -1
	s_and_saveexec_b32 s35, s3
	s_cbranch_execz .LBB5_124
; %bb.102:                              ;   in Loop: Header=BB5_6 Depth=1
	ds_load_b32 v12, v33 offset:128
	ds_load_b32 v13, v32 offset:128
	s_mov_b32 s49, exec_lo
	s_wait_dscnt 0x1
	v_cmp_lt_f32_e64 s7, v14, v12
	v_cmpx_nlt_f32_e32 v14, v12
	s_cbranch_execz .LBB5_104
; %bb.103:                              ;   in Loop: Header=BB5_6 Depth=1
	v_cmp_eq_f32_e32 vcc_lo, v14, v12
	s_wait_dscnt 0x0
	v_cmp_gt_i32_e64 s6, v11, v13
	s_and_not1_b32 s7, s7, exec_lo
	s_and_b32 s6, vcc_lo, s6
	s_delay_alu instid0(SALU_CYCLE_1) | instskip(NEXT) | instid1(SALU_CYCLE_1)
	s_and_b32 s6, s6, exec_lo
	s_or_b32 s7, s7, s6
.LBB5_104:                              ;   in Loop: Header=BB5_6 Depth=1
	s_or_b32 exec_lo, exec_lo, s49
	s_and_saveexec_b32 s6, s7
	s_cbranch_execz .LBB5_106
; %bb.105:                              ;   in Loop: Header=BB5_6 Depth=1
	s_wait_dscnt 0x0
	v_dual_mov_b32 v11, v13 :: v_dual_mov_b32 v14, v12
	ds_store_b32 v33, v12
	ds_store_b32 v32, v13
.LBB5_106:                              ;   in Loop: Header=BB5_6 Depth=1
	s_or_b32 exec_lo, exec_lo, s6
	ds_load_b32 v12, v33 offset:64
	s_wait_dscnt 0x1
	ds_load_b32 v13, v32 offset:64
	s_mov_b32 s49, exec_lo
	s_wait_dscnt 0x1
	v_cmp_lt_f32_e64 s7, v14, v12
	v_cmpx_nlt_f32_e32 v14, v12
	s_cbranch_execz .LBB5_108
; %bb.107:                              ;   in Loop: Header=BB5_6 Depth=1
	v_cmp_eq_f32_e32 vcc_lo, v14, v12
	s_wait_dscnt 0x0
	v_cmp_gt_i32_e64 s6, v11, v13
	s_and_not1_b32 s7, s7, exec_lo
	s_and_b32 s6, vcc_lo, s6
	s_delay_alu instid0(SALU_CYCLE_1) | instskip(NEXT) | instid1(SALU_CYCLE_1)
	s_and_b32 s6, s6, exec_lo
	s_or_b32 s7, s7, s6
.LBB5_108:                              ;   in Loop: Header=BB5_6 Depth=1
	s_or_b32 exec_lo, exec_lo, s49
	s_and_saveexec_b32 s6, s7
	s_cbranch_execz .LBB5_110
; %bb.109:                              ;   in Loop: Header=BB5_6 Depth=1
	s_wait_dscnt 0x0
	v_dual_mov_b32 v11, v13 :: v_dual_mov_b32 v14, v12
	ds_store_b32 v33, v12
	ds_store_b32 v32, v13
.LBB5_110:                              ;   in Loop: Header=BB5_6 Depth=1
	s_or_b32 exec_lo, exec_lo, s6
	ds_load_b32 v12, v33 offset:32
	s_wait_dscnt 0x1
	;; [unrolled: 28-line block ×5, first 2 shown]
	ds_load_b32 v13, v32 offset:4
	s_wait_dscnt 0x1
	v_cmp_eq_f32_e32 vcc_lo, v14, v12
	s_wait_dscnt 0x0
	v_cmp_gt_i32_e64 s6, v11, v13
	v_cmp_lt_f32_e64 s7, v14, v12
	s_and_b32 s6, vcc_lo, s6
	s_delay_alu instid0(SALU_CYCLE_1) | instskip(NEXT) | instid1(SALU_CYCLE_1)
	s_or_b32 s6, s7, s6
	s_and_b32 exec_lo, exec_lo, s6
	s_cbranch_execz .LBB5_124
; %bb.123:                              ;   in Loop: Header=BB5_6 Depth=1
	ds_store_b32 v33, v12
	ds_store_b32 v32, v13
.LBB5_124:                              ;   in Loop: Header=BB5_6 Depth=1
	s_or_b32 exec_lo, exec_lo, s35
.LBB5_125:                              ;   in Loop: Header=BB5_6 Depth=1
	s_and_saveexec_b32 s6, s2
	s_cbranch_execz .LBB5_127
; %bb.126:                              ;   in Loop: Header=BB5_6 Depth=1
	ds_load_b32 v11, v3 offset:1024
	s_wait_dscnt 0x0
	ds_store_b32 v3, v11 offset:2064
.LBB5_127:                              ;   in Loop: Header=BB5_6 Depth=1
	s_or_b32 exec_lo, exec_lo, s6
	ds_load_b32 v15, v3 offset:2048
	s_wait_dscnt 0x0
	v_cmp_gt_i32_e32 vcc_lo, 1, v15
	s_cbranch_vccnz .LBB5_172
; %bb.128:                              ;   in Loop: Header=BB5_6 Depth=1
	v_bfrev_b32_e32 v11, -2
	v_mov_b32_e32 v14, 0
	s_mov_b32 s35, exec_lo
	v_cmpx_lt_i32_e64 v0, v15
	s_cbranch_execz .LBB5_132
; %bb.129:                              ;   in Loop: Header=BB5_6 Depth=1
	v_lshl_add_u64 v[12:13], s[50:51], 3, v[4:5]
	v_bfrev_b32_e32 v11, -2
	v_dual_mov_b32 v14, 0 :: v_dual_mov_b32 v16, v0
	s_mov_b32 s49, 0
.LBB5_130:                              ;   Parent Loop BB5_6 Depth=1
                                        ; =>  This Inner Loop Header: Depth=2
	global_load_b64 v[18:19], v[12:13], off
	s_wait_xcnt 0x0
	v_add_nc_u64_e32 v[12:13], 0x800, v[12:13]
	s_wait_loadcnt 0x0
	v_cmp_gt_f32_e32 vcc_lo, 0, v19
	v_cndmask_b32_e64 v17, v19, -v19, vcc_lo
	v_cmp_gt_f32_e32 vcc_lo, 0, v18
	v_cndmask_b32_e64 v18, v18, -v18, vcc_lo
	v_cmp_eq_u32_e32 vcc_lo, 0x7fffffff, v11
	s_delay_alu instid0(VALU_DEP_2) | instskip(NEXT) | instid1(VALU_DEP_1)
	v_dual_add_f32 v17, v18, v17 :: v_dual_add_nc_u32 v18, 1, v16
	v_cmp_lt_f32_e64 s6, v14, v17
	s_or_b32 vcc_lo, s6, vcc_lo
	v_dual_cndmask_b32 v11, v11, v18 :: v_dual_add_nc_u32 v16, 0x100, v16
	v_cndmask_b32_e32 v14, v14, v17, vcc_lo
	s_delay_alu instid0(VALU_DEP_2) | instskip(SKIP_1) | instid1(SALU_CYCLE_1)
	v_cmp_ge_i32_e64 s7, v16, v15
	s_or_b32 s49, s7, s49
	s_and_not1_b32 exec_lo, exec_lo, s49
	s_cbranch_execnz .LBB5_130
; %bb.131:                              ;   in Loop: Header=BB5_6 Depth=1
	s_or_b32 exec_lo, exec_lo, s49
.LBB5_132:                              ;   in Loop: Header=BB5_6 Depth=1
	s_delay_alu instid0(SALU_CYCLE_1)
	s_or_b32 exec_lo, exec_lo, s35
	v_cmp_eq_u32_e32 vcc_lo, 1, v15
	ds_store_b32 v33, v14
	ds_store_b32 v32, v11
	s_wait_dscnt 0x0
	s_barrier_signal -1
	s_barrier_wait -1
	s_cbranch_vccnz .LBB5_169
; %bb.133:                              ;   in Loop: Header=BB5_6 Depth=1
	s_and_saveexec_b32 s7, s0
	s_cbranch_execz .LBB5_139
; %bb.134:                              ;   in Loop: Header=BB5_6 Depth=1
	ds_load_b32 v12, v33 offset:512
	ds_load_b32 v13, v32 offset:512
	s_mov_b32 s49, exec_lo
	s_wait_dscnt 0x1
	v_cmp_lt_f32_e64 s35, v14, v12
	v_cmpx_nlt_f32_e32 v14, v12
	s_cbranch_execz .LBB5_136
; %bb.135:                              ;   in Loop: Header=BB5_6 Depth=1
	v_cmp_eq_f32_e32 vcc_lo, v14, v12
	s_wait_dscnt 0x0
	v_cmp_gt_i32_e64 s6, v11, v13
	s_and_not1_b32 s35, s35, exec_lo
	s_and_b32 s6, vcc_lo, s6
	s_delay_alu instid0(SALU_CYCLE_1) | instskip(NEXT) | instid1(SALU_CYCLE_1)
	s_and_b32 s6, s6, exec_lo
	s_or_b32 s35, s35, s6
.LBB5_136:                              ;   in Loop: Header=BB5_6 Depth=1
	s_or_b32 exec_lo, exec_lo, s49
	s_and_saveexec_b32 s6, s35
	s_cbranch_execz .LBB5_138
; %bb.137:                              ;   in Loop: Header=BB5_6 Depth=1
	s_wait_dscnt 0x0
	v_dual_mov_b32 v14, v12 :: v_dual_mov_b32 v11, v13
	ds_store_b32 v33, v12
	ds_store_b32 v32, v13
.LBB5_138:                              ;   in Loop: Header=BB5_6 Depth=1
	s_or_b32 exec_lo, exec_lo, s6
.LBB5_139:                              ;   in Loop: Header=BB5_6 Depth=1
	s_delay_alu instid0(SALU_CYCLE_1)
	s_or_b32 exec_lo, exec_lo, s7
	s_wait_dscnt 0x0
	s_barrier_signal -1
	s_barrier_wait -1
	s_and_saveexec_b32 s7, s1
	s_cbranch_execz .LBB5_145
; %bb.140:                              ;   in Loop: Header=BB5_6 Depth=1
	ds_load_b32 v12, v33 offset:256
	ds_load_b32 v13, v32 offset:256
	s_mov_b32 s49, exec_lo
	s_wait_dscnt 0x1
	v_cmp_lt_f32_e64 s35, v14, v12
	v_cmpx_nlt_f32_e32 v14, v12
	s_cbranch_execz .LBB5_142
; %bb.141:                              ;   in Loop: Header=BB5_6 Depth=1
	v_cmp_eq_f32_e32 vcc_lo, v14, v12
	s_wait_dscnt 0x0
	v_cmp_gt_i32_e64 s6, v11, v13
	s_and_not1_b32 s35, s35, exec_lo
	s_and_b32 s6, vcc_lo, s6
	s_delay_alu instid0(SALU_CYCLE_1) | instskip(NEXT) | instid1(SALU_CYCLE_1)
	s_and_b32 s6, s6, exec_lo
	s_or_b32 s35, s35, s6
.LBB5_142:                              ;   in Loop: Header=BB5_6 Depth=1
	s_or_b32 exec_lo, exec_lo, s49
	s_and_saveexec_b32 s6, s35
	s_cbranch_execz .LBB5_144
; %bb.143:                              ;   in Loop: Header=BB5_6 Depth=1
	s_wait_dscnt 0x0
	v_dual_mov_b32 v14, v12 :: v_dual_mov_b32 v11, v13
	ds_store_b32 v33, v12
	ds_store_b32 v32, v13
.LBB5_144:                              ;   in Loop: Header=BB5_6 Depth=1
	s_or_b32 exec_lo, exec_lo, s6
.LBB5_145:                              ;   in Loop: Header=BB5_6 Depth=1
	s_delay_alu instid0(SALU_CYCLE_1)
	s_or_b32 exec_lo, exec_lo, s7
	s_wait_dscnt 0x0
	s_barrier_signal -1
	s_barrier_wait -1
	s_and_saveexec_b32 s35, s3
	s_cbranch_execz .LBB5_168
; %bb.146:                              ;   in Loop: Header=BB5_6 Depth=1
	ds_load_b32 v12, v33 offset:128
	ds_load_b32 v13, v32 offset:128
	s_mov_b32 s49, exec_lo
	s_wait_dscnt 0x1
	v_cmp_lt_f32_e64 s7, v14, v12
	v_cmpx_nlt_f32_e32 v14, v12
	s_cbranch_execz .LBB5_148
; %bb.147:                              ;   in Loop: Header=BB5_6 Depth=1
	v_cmp_eq_f32_e32 vcc_lo, v14, v12
	s_wait_dscnt 0x0
	v_cmp_gt_i32_e64 s6, v11, v13
	s_and_not1_b32 s7, s7, exec_lo
	s_and_b32 s6, vcc_lo, s6
	s_delay_alu instid0(SALU_CYCLE_1) | instskip(NEXT) | instid1(SALU_CYCLE_1)
	s_and_b32 s6, s6, exec_lo
	s_or_b32 s7, s7, s6
.LBB5_148:                              ;   in Loop: Header=BB5_6 Depth=1
	s_or_b32 exec_lo, exec_lo, s49
	s_and_saveexec_b32 s6, s7
	s_cbranch_execz .LBB5_150
; %bb.149:                              ;   in Loop: Header=BB5_6 Depth=1
	s_wait_dscnt 0x0
	v_dual_mov_b32 v11, v13 :: v_dual_mov_b32 v14, v12
	ds_store_b32 v33, v12
	ds_store_b32 v32, v13
.LBB5_150:                              ;   in Loop: Header=BB5_6 Depth=1
	s_or_b32 exec_lo, exec_lo, s6
	ds_load_b32 v12, v33 offset:64
	s_wait_dscnt 0x1
	ds_load_b32 v13, v32 offset:64
	s_mov_b32 s49, exec_lo
	s_wait_dscnt 0x1
	v_cmp_lt_f32_e64 s7, v14, v12
	v_cmpx_nlt_f32_e32 v14, v12
	s_cbranch_execz .LBB5_152
; %bb.151:                              ;   in Loop: Header=BB5_6 Depth=1
	v_cmp_eq_f32_e32 vcc_lo, v14, v12
	s_wait_dscnt 0x0
	v_cmp_gt_i32_e64 s6, v11, v13
	s_and_not1_b32 s7, s7, exec_lo
	s_and_b32 s6, vcc_lo, s6
	s_delay_alu instid0(SALU_CYCLE_1) | instskip(NEXT) | instid1(SALU_CYCLE_1)
	s_and_b32 s6, s6, exec_lo
	s_or_b32 s7, s7, s6
.LBB5_152:                              ;   in Loop: Header=BB5_6 Depth=1
	s_or_b32 exec_lo, exec_lo, s49
	s_and_saveexec_b32 s6, s7
	s_cbranch_execz .LBB5_154
; %bb.153:                              ;   in Loop: Header=BB5_6 Depth=1
	s_wait_dscnt 0x0
	v_dual_mov_b32 v11, v13 :: v_dual_mov_b32 v14, v12
	ds_store_b32 v33, v12
	ds_store_b32 v32, v13
.LBB5_154:                              ;   in Loop: Header=BB5_6 Depth=1
	s_or_b32 exec_lo, exec_lo, s6
	ds_load_b32 v12, v33 offset:32
	s_wait_dscnt 0x1
	;; [unrolled: 28-line block ×5, first 2 shown]
	ds_load_b32 v13, v32 offset:4
	s_wait_dscnt 0x1
	v_cmp_eq_f32_e32 vcc_lo, v14, v12
	s_wait_dscnt 0x0
	v_cmp_gt_i32_e64 s6, v11, v13
	v_cmp_lt_f32_e64 s7, v14, v12
	s_and_b32 s6, vcc_lo, s6
	s_delay_alu instid0(SALU_CYCLE_1) | instskip(NEXT) | instid1(SALU_CYCLE_1)
	s_or_b32 s6, s7, s6
	s_and_b32 exec_lo, exec_lo, s6
	s_cbranch_execz .LBB5_168
; %bb.167:                              ;   in Loop: Header=BB5_6 Depth=1
	ds_store_b32 v33, v12
	ds_store_b32 v32, v13
.LBB5_168:                              ;   in Loop: Header=BB5_6 Depth=1
	s_or_b32 exec_lo, exec_lo, s35
.LBB5_169:                              ;   in Loop: Header=BB5_6 Depth=1
	s_and_saveexec_b32 s6, s2
	s_cbranch_execz .LBB5_171
; %bb.170:                              ;   in Loop: Header=BB5_6 Depth=1
	ds_load_b32 v11, v3 offset:2064
	ds_load_b32 v12, v3 offset:1024
	s_wait_dscnt 0x0
	v_cmp_lt_f32_e32 vcc_lo, v11, v12
	v_cndmask_b32_e32 v11, v11, v12, vcc_lo
	ds_store_b32 v3, v11 offset:2064
.LBB5_171:                              ;   in Loop: Header=BB5_6 Depth=1
	s_or_b32 exec_lo, exec_lo, s6
.LBB5_172:                              ;   in Loop: Header=BB5_6 Depth=1
	s_wait_dscnt 0x0
	s_barrier_signal -1
	s_barrier_wait -1
	ds_load_b64 v[12:13], v3 offset:2056
	ds_load_b32 v11, v3 offset:2064
	s_wait_dscnt 0x0
	v_div_scale_f32 v14, null, v11, v11, v13
	s_delay_alu instid0(VALU_DEP_1)
	v_rcp_f32_e32 v15, v14
	v_nop
	v_xor_b32_e32 v14, 0x80000000, v14
	s_delay_alu instid0(TRANS32_DEP_1) | instid1(VALU_DEP_1)
	v_fma_f32 v16, v14, v15, 1.0
	s_delay_alu instid0(VALU_DEP_1) | instskip(SKIP_1) | instid1(VALU_DEP_1)
	v_fmac_f32_e32 v15, v16, v15
	v_div_scale_f32 v16, vcc_lo, v13, v11, v13
	v_mul_f32_e32 v17, v16, v15
	s_delay_alu instid0(VALU_DEP_1) | instskip(NEXT) | instid1(VALU_DEP_1)
	v_fma_f32 v18, v14, v17, v16
	v_fmac_f32_e32 v17, v18, v15
	s_delay_alu instid0(VALU_DEP_1) | instskip(NEXT) | instid1(VALU_DEP_1)
	v_fmac_f32_e32 v16, v14, v17
	v_div_fmas_f32 v14, v16, v15, v17
	v_mul_f32_e32 v15, 0x3f23f07b, v13
	s_delay_alu instid0(VALU_DEP_2) | instskip(NEXT) | instid1(VALU_DEP_1)
	v_div_fixup_f32 v13, v14, v11, v13
	v_mul_f32_e32 v13, v15, v13
	s_delay_alu instid0(VALU_DEP_1)
	v_cmp_ge_f32_e32 vcc_lo, v12, v13
	s_cbranch_vccnz .LBB5_178
; %bb.173:                              ;   in Loop: Header=BB5_6 Depth=1
	ds_load_b32 v14, v3 offset:2048
	s_wait_dscnt 0x0
	v_dual_mul_f32 v11, 0x3f23f07b, v11 :: v_dual_add_nc_u32 v12, s50, v14
	v_readfirstlane_b32 s51, v14
	global_load_b64 v[12:13], v12, s[36:37] scale_offset
	s_wait_loadcnt 0x0
	v_xor_b32_e32 v15, 0x80000000, v13
	v_cmp_gt_f32_e32 vcc_lo, 0, v13
	v_xor_b32_e32 v16, 0x80000000, v12
	s_delay_alu instid0(VALU_DEP_3) | instskip(SKIP_1) | instid1(VALU_DEP_3)
	v_cndmask_b32_e32 v13, v13, v15, vcc_lo
	v_cmp_gt_f32_e32 vcc_lo, 0, v12
	v_cndmask_b32_e32 v12, v12, v16, vcc_lo
	s_delay_alu instid0(VALU_DEP_1) | instskip(NEXT) | instid1(VALU_DEP_1)
	v_add_f32_e32 v12, v12, v13
	v_cmp_nge_f32_e32 vcc_lo, v12, v11
	s_cbranch_vccnz .LBB5_198
; %bb.174:                              ;   in Loop: Header=BB5_6 Depth=1
	s_and_saveexec_b32 s6, s5
	s_cbranch_execz .LBB5_177
; %bb.175:                              ;   in Loop: Header=BB5_6 Depth=1
	v_dual_add_nc_u32 v12, s48, v0 :: v_dual_add_nc_u32 v14, s50, v0
	v_mov_b32_e32 v11, v0
	s_mov_b32 s5, 0
	s_delay_alu instid0(VALU_DEP_2) | instskip(NEXT) | instid1(VALU_DEP_1)
	v_dual_ashrrev_i32 v13, 31, v12 :: v_dual_ashrrev_i32 v15, 31, v14
	v_lshl_add_u64 v[12:13], v[12:13], 3, s[36:37]
	s_delay_alu instid0(VALU_DEP_2)
	v_lshl_add_u64 v[14:15], v[14:15], 3, s[36:37]
.LBB5_176:                              ;   Parent Loop BB5_6 Depth=1
                                        ; =>  This Inner Loop Header: Depth=2
	global_load_b64 v[16:17], v[14:15], off
	v_add_nc_u32_e32 v11, 0x100, v11
	s_wait_xcnt 0x0
	v_add_nc_u64_e32 v[14:15], 0x800, v[14:15]
	s_delay_alu instid0(VALU_DEP_2)
	v_cmp_lt_i32_e32 vcc_lo, s34, v11
	s_or_b32 s5, vcc_lo, s5
	s_wait_loadcnt 0x0
	global_store_b64 v[12:13], v[16:17], off
	s_wait_xcnt 0x0
	v_add_nc_u64_e32 v[12:13], 0x800, v[12:13]
	s_and_not1_b32 exec_lo, exec_lo, s5
	s_cbranch_execnz .LBB5_176
.LBB5_177:                              ;   in Loop: Header=BB5_6 Depth=1
	s_or_b32 exec_lo, exec_lo, s6
	s_mov_b32 s5, -1
	s_mov_b32 s35, -1
	s_wait_storecnt 0x0
	s_barrier_signal -1
	s_barrier_wait -1
	s_add_co_i32 s6, s35, s34
	s_delay_alu instid0(SALU_CYCLE_1) | instskip(NEXT) | instid1(SALU_CYCLE_1)
	s_add_co_i32 s49, s6, 1
	s_cmp_eq_u32 s51, s49
	s_cbranch_scc0 .LBB5_179
	s_branch .LBB5_194
.LBB5_178:                              ;   in Loop: Header=BB5_6 Depth=1
	s_mov_b32 s5, -1
	s_mov_b32 s35, -1
	s_mov_b32 s51, s34
	s_add_co_i32 s6, s35, s34
	s_delay_alu instid0(SALU_CYCLE_1) | instskip(NEXT) | instid1(SALU_CYCLE_1)
	s_add_co_i32 s49, s6, 1
	s_cmp_eq_u32 s51, s49
	s_cbranch_scc1 .LBB5_194
.LBB5_179:                              ;   in Loop: Header=BB5_6 Depth=1
	s_and_saveexec_b32 s7, s2
	s_cbranch_execz .LBB5_181
; %bb.180:                              ;   in Loop: Header=BB5_6 Depth=1
	s_mul_i32 s50, s49, s55
	s_delay_alu instid0(SALU_CYCLE_1)
	v_mov_b32_e32 v11, s50
	s_mul_i32 s50, s51, s55
	global_load_b64 v[12:13], v11, s[20:21] scale_offset
	s_wait_xcnt 0x0
	v_mov_b32_e32 v11, s50
	s_wait_loadcnt 0x0
	global_store_b64 v11, v[12:13], s[20:21] scale_offset
.LBB5_181:                              ;   in Loop: Header=BB5_6 Depth=1
	s_wait_xcnt 0x0
	s_or_b32 exec_lo, exec_lo, s7
	s_sub_co_i32 s7, s6, s51
	s_mov_b32 s50, exec_lo
	v_cmpx_gt_i32_e64 s7, v0
	s_cbranch_execz .LBB5_184
; %bb.182:                              ;   in Loop: Header=BB5_6 Depth=1
	v_dual_mov_b32 v12, v0 :: v_dual_add_nc_u32 v11, s51, v1
	s_mul_i32 s52, s49, s17
	s_mov_b32 s53, 0
	s_add_co_i32 s52, s51, s52
	s_delay_alu instid0(VALU_DEP_1)
	v_mad_u32 v11, s17, v11, s51
	s_add_co_i32 s52, s52, 1
.LBB5_183:                              ;   Parent Loop BB5_6 Depth=1
                                        ; =>  This Inner Loop Header: Depth=2
	s_delay_alu instid0(SALU_CYCLE_1)
	v_add_nc_u32_e32 v13, s52, v12
	v_add_nc_u32_e32 v12, 0x100, v12
	global_load_b64 v[14:15], v13, s[20:21] scale_offset
	v_cmp_le_i32_e32 vcc_lo, s7, v12
	s_or_b32 s53, vcc_lo, s53
	s_wait_loadcnt 0x0
	global_store_b64 v11, v[14:15], s[20:21] scale_offset
	s_wait_xcnt 0x0
	v_add_nc_u32_e32 v11, s57, v11
	s_and_not1_b32 exec_lo, exec_lo, s53
	s_cbranch_execnz .LBB5_183
.LBB5_184:                              ;   in Loop: Header=BB5_6 Depth=1
	s_or_b32 exec_lo, exec_lo, s50
	s_delay_alu instid0(SALU_CYCLE_1)
	s_mov_b32 s7, exec_lo
	v_cmpx_gt_i32_e64 s51, v0
	s_cbranch_execz .LBB5_187
; %bb.185:                              ;   in Loop: Header=BB5_6 Depth=1
	v_mad_u32 v12, s51, s17, v0
	v_mad_u32 v14, s49, s17, v0
	v_mov_b32_e32 v11, v0
	s_mov_b32 s50, 0
	s_delay_alu instid0(VALU_DEP_2) | instskip(NEXT) | instid1(VALU_DEP_1)
	v_dual_ashrrev_i32 v13, 31, v12 :: v_dual_ashrrev_i32 v15, 31, v14
	v_lshl_add_u64 v[12:13], v[12:13], 3, s[38:39]
	s_delay_alu instid0(VALU_DEP_2)
	v_lshl_add_u64 v[14:15], v[14:15], 3, s[38:39]
.LBB5_186:                              ;   Parent Loop BB5_6 Depth=1
                                        ; =>  This Inner Loop Header: Depth=2
	global_load_b64 v[16:17], v[14:15], off
	v_add_nc_u32_e32 v11, 0x100, v11
	s_wait_xcnt 0x0
	v_add_nc_u64_e32 v[14:15], 0x800, v[14:15]
	s_delay_alu instid0(VALU_DEP_2)
	v_cmp_le_i32_e32 vcc_lo, s51, v11
	s_or_b32 s50, vcc_lo, s50
	s_wait_loadcnt 0x0
	global_store_b64 v[12:13], v[16:17], off
	s_wait_xcnt 0x0
	v_add_nc_u64_e32 v[12:13], 0x800, v[12:13]
	s_and_not1_b32 exec_lo, exec_lo, s50
	s_cbranch_execnz .LBB5_186
.LBB5_187:                              ;   in Loop: Header=BB5_6 Depth=1
	s_or_b32 exec_lo, exec_lo, s7
	s_not_b32 s7, s34
	s_mov_b32 s52, exec_lo
	s_add_co_i32 s50, s18, s7
	s_wait_storecnt 0x0
	s_barrier_signal -1
	s_barrier_wait -1
	v_cmpx_gt_i32_e64 s50, v0
	s_cbranch_execz .LBB5_190
; %bb.188:                              ;   in Loop: Header=BB5_6 Depth=1
	v_add_nc_u32_e32 v11, s34, v1
	s_ashr_i32 s7, s6, 31
	s_mov_b32 s53, 0
	s_delay_alu instid0(VALU_DEP_1)
	v_mul_lo_u32 v12, s17, v11
	v_mov_b32_e32 v11, v0
.LBB5_189:                              ;   Parent Loop BB5_6 Depth=1
                                        ; =>  This Inner Loop Header: Depth=2
	s_delay_alu instid0(VALU_DEP_2) | instskip(NEXT) | instid1(VALU_DEP_2)
	v_ashrrev_i32_e32 v13, 31, v12
	v_add_nc_u32_e32 v11, 0x100, v11
	s_delay_alu instid0(VALU_DEP_2) | instskip(SKIP_1) | instid1(VALU_DEP_3)
	v_add_nc_u64_e32 v[14:15], s[6:7], v[12:13]
	v_add_nc_u32_e32 v13, s51, v12
	v_cmp_le_i32_e32 vcc_lo, s50, v11
	v_add_nc_u32_e32 v12, s57, v12
	s_or_b32 s53, vcc_lo, s53
	s_delay_alu instid0(VALU_DEP_4)
	v_lshl_add_u64 v[14:15], v[14:15], 3, s[20:21]
	s_clause 0x1
	global_load_b64 v[16:17], v13, s[20:21] scale_offset
	global_load_b64 v[18:19], v[14:15], off offset:8
	s_wait_loadcnt 0x1
	global_store_b64 v[14:15], v[16:17], off offset:8
	s_wait_loadcnt 0x0
	global_store_b64 v13, v[18:19], s[20:21] scale_offset
	s_wait_xcnt 0x0
	s_and_not1_b32 exec_lo, exec_lo, s53
	s_cbranch_execnz .LBB5_189
.LBB5_190:                              ;   in Loop: Header=BB5_6 Depth=1
	s_or_b32 exec_lo, exec_lo, s52
	s_sub_co_i32 s49, s18, s49
	s_mov_b32 s50, exec_lo
	v_cmpx_gt_i32_e64 s49, v0
	s_cbranch_execz .LBB5_193
; %bb.191:                              ;   in Loop: Header=BB5_6 Depth=1
	v_add3_u32 v11, s34, s35, v34
	s_ashr_i32 s7, s6, 31
	s_mov_b32 s35, 0
	s_delay_alu instid0(VALU_DEP_1)
	v_mul_lo_u32 v12, s18, v11
	v_mov_b32_e32 v11, v0
.LBB5_192:                              ;   Parent Loop BB5_6 Depth=1
                                        ; =>  This Inner Loop Header: Depth=2
	s_delay_alu instid0(VALU_DEP_2) | instskip(NEXT) | instid1(VALU_DEP_2)
	v_ashrrev_i32_e32 v13, 31, v12
	v_add_nc_u32_e32 v11, 0x100, v11
	s_delay_alu instid0(VALU_DEP_2) | instskip(SKIP_1) | instid1(VALU_DEP_3)
	v_add_nc_u64_e32 v[14:15], s[6:7], v[12:13]
	v_add_nc_u32_e32 v13, s51, v12
	v_cmp_le_i32_e32 vcc_lo, s49, v11
	v_add_nc_u32_e32 v12, s58, v12
	s_or_b32 s35, vcc_lo, s35
	s_delay_alu instid0(VALU_DEP_4)
	v_lshl_add_u64 v[14:15], v[14:15], 3, s[36:37]
	s_clause 0x1
	global_load_b64 v[16:17], v13, s[36:37] scale_offset
	global_load_b64 v[18:19], v[14:15], off offset:8
	s_wait_loadcnt 0x1
	global_store_b64 v[14:15], v[16:17], off offset:8
	s_wait_loadcnt 0x0
	global_store_b64 v13, v[18:19], s[36:37] scale_offset
	s_wait_xcnt 0x0
	s_and_not1_b32 exec_lo, exec_lo, s35
	s_cbranch_execnz .LBB5_192
.LBB5_193:                              ;   in Loop: Header=BB5_6 Depth=1
	s_or_b32 exec_lo, exec_lo, s50
	s_wait_storecnt 0x0
	s_barrier_signal -1
	s_barrier_wait -1
.LBB5_194:                              ;   in Loop: Header=BB5_6 Depth=1
	s_xor_b32 s5, s5, -1
	s_mov_b32 s7, -1
	s_and_b32 vcc_lo, exec_lo, s5
	s_cbranch_vccz .LBB5_216
; %bb.195:                              ;   in Loop: Header=BB5_6 Depth=1
	s_cmp_lt_i32 s34, 2
	s_cbranch_scc1 .LBB5_213
; %bb.196:                              ;   in Loop: Header=BB5_6 Depth=1
	s_ashr_i32 s49, s48, 31
	s_ashr_i32 s35, s34, 31
	s_add_co_i32 s5, s48, s34
	s_add_nc_u64 s[6:7], s[48:49], s[34:35]
	v_mov_b32_e32 v11, s5
	s_lshl_b64 s[6:7], s[6:7], 3
	s_delay_alu instid0(SALU_CYCLE_1)
	s_add_nc_u64 s[6:7], s[36:37], s[6:7]
	s_clause 0x1
	global_load_b64 v[16:17], v3, s[6:7] offset:-8
	global_load_b64 v[12:13], v11, s[36:37] scale_offset
	s_wait_loadcnt 0x1
	s_wait_xcnt 0x0
	v_and_b32_e32 v11, 0x7fffffff, v16
	v_and_b32_e32 v14, 0x7fffffff, v17
	s_wait_loadcnt 0x0
	v_mov_b32_e32 v15, v12
	s_delay_alu instid0(VALU_DEP_2)
	v_cmp_ngt_f32_e64 s5, v11, v14
	v_mov_b32_e32 v14, v13
	s_and_b32 vcc_lo, exec_lo, s5
	s_cbranch_vccz .LBB5_199
; %bb.197:                              ;   in Loop: Header=BB5_6 Depth=1
	v_div_scale_f32 v11, null, v17, v17, v16
	v_div_scale_f32 v18, vcc_lo, v16, v17, v16
	s_delay_alu instid0(VALU_DEP_2)
	v_rcp_f32_e32 v12, v11
	v_nop
	v_xor_b32_e32 v11, 0x80000000, v11
	s_delay_alu instid0(TRANS32_DEP_1) | instid1(VALU_DEP_1)
	v_fma_f32 v13, v11, v12, 1.0
	s_delay_alu instid0(VALU_DEP_1) | instskip(NEXT) | instid1(VALU_DEP_1)
	v_fmac_f32_e32 v12, v13, v12
	v_mul_f32_e32 v13, v18, v12
	s_delay_alu instid0(VALU_DEP_1) | instskip(NEXT) | instid1(VALU_DEP_1)
	v_fma_f32 v19, v11, v13, v18
	v_fmac_f32_e32 v13, v19, v12
	s_delay_alu instid0(VALU_DEP_1) | instskip(NEXT) | instid1(VALU_DEP_1)
	v_fmac_f32_e32 v18, v11, v13
	v_div_fmas_f32 v11, v18, v12, v13
	s_delay_alu instid0(VALU_DEP_1) | instskip(NEXT) | instid1(VALU_DEP_1)
	v_div_fixup_f32 v12, v11, v17, v16
	v_fma_f32 v11, v16, v12, v17
	s_delay_alu instid0(VALU_DEP_1) | instskip(SKIP_1) | instid1(VALU_DEP_2)
	v_div_scale_f32 v13, null, v11, v11, 1.0
	v_div_scale_f32 v20, vcc_lo, 1.0, v11, 1.0
	v_rcp_f32_e32 v18, v13
	v_nop
	v_xor_b32_e32 v13, 0x80000000, v13
	s_delay_alu instid0(TRANS32_DEP_1) | instid1(VALU_DEP_1)
	v_fma_f32 v19, v13, v18, 1.0
	s_delay_alu instid0(VALU_DEP_1) | instskip(NEXT) | instid1(VALU_DEP_1)
	v_fmac_f32_e32 v18, v19, v18
	v_mul_f32_e32 v19, v20, v18
	s_delay_alu instid0(VALU_DEP_1) | instskip(NEXT) | instid1(VALU_DEP_1)
	v_fma_f32 v21, v13, v19, v20
	v_fmac_f32_e32 v19, v21, v18
	s_delay_alu instid0(VALU_DEP_1) | instskip(NEXT) | instid1(VALU_DEP_1)
	v_fmac_f32_e32 v20, v13, v19
	v_div_fmas_f32 v20, v20, v18, v19
	v_pk_fma_f32 v[18:19], v[12:13], v[14:15], v[14:15] op_sel:[0,0,1] op_sel_hi:[0,1,0]
	v_pk_fma_f32 v[12:13], v[12:13], v[14:15], v[14:15] op_sel:[0,0,1] op_sel_hi:[0,1,0] neg_lo:[0,0,1] neg_hi:[0,0,1]
	s_delay_alu instid0(VALU_DEP_3) | instskip(NEXT) | instid1(VALU_DEP_3)
	v_div_fixup_f32 v18, v20, v11, 1.0
	v_mov_b32_e32 v13, v19
	s_delay_alu instid0(VALU_DEP_1)
	v_pk_mul_f32 v[12:13], v[18:19], v[12:13] op_sel_hi:[0,1]
	s_cbranch_execz .LBB5_200
	s_branch .LBB5_201
.LBB5_198:                              ;   in Loop: Header=BB5_6 Depth=1
	s_mov_b32 s5, 0
	s_mov_b32 s35, -2
	s_delay_alu instid0(SALU_CYCLE_1) | instskip(NEXT) | instid1(SALU_CYCLE_1)
	s_add_co_i32 s6, s35, s34
	s_add_co_i32 s49, s6, 1
	s_delay_alu instid0(SALU_CYCLE_1)
	s_cmp_eq_u32 s51, s49
	s_cbranch_scc0 .LBB5_179
	s_branch .LBB5_194
.LBB5_199:                              ;   in Loop: Header=BB5_6 Depth=1
                                        ; implicit-def: $vgpr12_vgpr13
.LBB5_200:                              ;   in Loop: Header=BB5_6 Depth=1
	v_div_scale_f32 v11, null, v16, v16, v17
	v_div_scale_f32 v18, vcc_lo, v17, v16, v17
	s_delay_alu instid0(VALU_DEP_2)
	v_rcp_f32_e32 v12, v11
	v_nop
	v_xor_b32_e32 v11, 0x80000000, v11
	s_delay_alu instid0(TRANS32_DEP_1) | instid1(VALU_DEP_1)
	v_fma_f32 v13, v11, v12, 1.0
	s_delay_alu instid0(VALU_DEP_1) | instskip(NEXT) | instid1(VALU_DEP_1)
	v_fmac_f32_e32 v12, v13, v12
	v_mul_f32_e32 v13, v18, v12
	s_delay_alu instid0(VALU_DEP_1) | instskip(NEXT) | instid1(VALU_DEP_1)
	v_fma_f32 v19, v11, v13, v18
	v_fmac_f32_e32 v13, v19, v12
	s_delay_alu instid0(VALU_DEP_1) | instskip(NEXT) | instid1(VALU_DEP_1)
	v_fmac_f32_e32 v18, v11, v13
	v_div_fmas_f32 v11, v18, v12, v13
	s_delay_alu instid0(VALU_DEP_1) | instskip(NEXT) | instid1(VALU_DEP_1)
	v_div_fixup_f32 v12, v11, v16, v17
	v_fma_f32 v11, v17, v12, v16
	s_delay_alu instid0(VALU_DEP_1) | instskip(SKIP_1) | instid1(VALU_DEP_2)
	v_div_scale_f32 v13, null, v11, v11, 1.0
	v_div_scale_f32 v20, vcc_lo, 1.0, v11, 1.0
	v_rcp_f32_e32 v18, v13
	v_nop
	v_xor_b32_e32 v13, 0x80000000, v13
	s_delay_alu instid0(TRANS32_DEP_1) | instid1(VALU_DEP_1)
	v_fma_f32 v19, v13, v18, 1.0
	s_delay_alu instid0(VALU_DEP_1) | instskip(NEXT) | instid1(VALU_DEP_1)
	v_fmac_f32_e32 v18, v19, v18
	v_mul_f32_e32 v19, v20, v18
	s_delay_alu instid0(VALU_DEP_1) | instskip(NEXT) | instid1(VALU_DEP_1)
	v_fma_f32 v21, v13, v19, v20
	v_fmac_f32_e32 v19, v21, v18
	s_delay_alu instid0(VALU_DEP_1) | instskip(NEXT) | instid1(VALU_DEP_1)
	v_fmac_f32_e32 v20, v13, v19
	v_div_fmas_f32 v20, v20, v18, v19
	v_pk_fma_f32 v[18:19], v[12:13], v[14:15], v[14:15] op_sel:[0,1,0] op_sel_hi:[0,0,1]
	v_pk_fma_f32 v[12:13], v[12:13], v[14:15], v[14:15] op_sel:[0,1,0] op_sel_hi:[0,0,1] neg_lo:[1,0,0] neg_hi:[1,0,0]
	s_delay_alu instid0(VALU_DEP_3) | instskip(NEXT) | instid1(VALU_DEP_3)
	v_div_fixup_f32 v14, v20, v11, 1.0
	v_mov_b32_e32 v13, v19
	s_delay_alu instid0(VALU_DEP_1)
	v_pk_mul_f32 v[12:13], v[14:15], v[12:13] op_sel_hi:[0,1]
.LBB5_201:                              ;   in Loop: Header=BB5_6 Depth=1
	s_add_co_i32 s6, s61, -1
	s_and_b32 vcc_lo, exec_lo, s5
	s_mul_i32 s6, s6, s18
	s_delay_alu instid0(SALU_CYCLE_1) | instskip(NEXT) | instid1(SALU_CYCLE_1)
	s_ashr_i32 s7, s6, 31
	s_add_nc_u64 s[52:53], s[6:7], s[34:35]
	s_delay_alu instid0(SALU_CYCLE_1) | instskip(NEXT) | instid1(SALU_CYCLE_1)
	s_lshl_b64 s[52:53], s[52:53], 3
	s_add_nc_u64 s[52:53], s[36:37], s[52:53]
	global_load_b64 v[14:15], v3, s[52:53] offset:-8
	s_wait_loadcnt 0x0
	v_dual_mov_b32 v18, v15 :: v_dual_mov_b32 v19, v14
	s_cbranch_vccz .LBB5_203
; %bb.202:                              ;   in Loop: Header=BB5_6 Depth=1
	v_div_scale_f32 v11, null, v17, v17, v16
	v_div_scale_f32 v20, vcc_lo, v16, v17, v16
	s_delay_alu instid0(VALU_DEP_2)
	v_rcp_f32_e32 v14, v11
	v_nop
	v_xor_b32_e32 v11, 0x80000000, v11
	s_delay_alu instid0(TRANS32_DEP_1) | instid1(VALU_DEP_1)
	v_fma_f32 v15, v11, v14, 1.0
	s_delay_alu instid0(VALU_DEP_1) | instskip(NEXT) | instid1(VALU_DEP_1)
	v_fmac_f32_e32 v14, v15, v14
	v_mul_f32_e32 v15, v20, v14
	s_delay_alu instid0(VALU_DEP_1) | instskip(NEXT) | instid1(VALU_DEP_1)
	v_fma_f32 v21, v11, v15, v20
	v_fmac_f32_e32 v15, v21, v14
	s_delay_alu instid0(VALU_DEP_1) | instskip(NEXT) | instid1(VALU_DEP_1)
	v_fmac_f32_e32 v20, v11, v15
	v_div_fmas_f32 v11, v20, v14, v15
	s_delay_alu instid0(VALU_DEP_1) | instskip(NEXT) | instid1(VALU_DEP_1)
	v_div_fixup_f32 v14, v11, v17, v16
	v_fma_f32 v11, v16, v14, v17
	s_delay_alu instid0(VALU_DEP_1) | instskip(SKIP_1) | instid1(VALU_DEP_2)
	v_div_scale_f32 v15, null, v11, v11, 1.0
	v_div_scale_f32 v22, vcc_lo, 1.0, v11, 1.0
	v_rcp_f32_e32 v20, v15
	v_nop
	v_xor_b32_e32 v15, 0x80000000, v15
	s_delay_alu instid0(TRANS32_DEP_1) | instid1(VALU_DEP_1)
	v_fma_f32 v21, v15, v20, 1.0
	s_delay_alu instid0(VALU_DEP_1) | instskip(NEXT) | instid1(VALU_DEP_1)
	v_fmac_f32_e32 v20, v21, v20
	v_mul_f32_e32 v21, v22, v20
	s_delay_alu instid0(VALU_DEP_1) | instskip(NEXT) | instid1(VALU_DEP_1)
	v_fma_f32 v23, v15, v21, v22
	v_fmac_f32_e32 v21, v23, v20
	s_delay_alu instid0(VALU_DEP_1) | instskip(NEXT) | instid1(VALU_DEP_1)
	v_fmac_f32_e32 v22, v15, v21
	v_div_fmas_f32 v22, v22, v20, v21
	v_pk_fma_f32 v[20:21], v[14:15], v[18:19], v[18:19] op_sel:[0,0,1] op_sel_hi:[0,1,0]
	v_pk_fma_f32 v[14:15], v[14:15], v[18:19], v[18:19] op_sel:[0,0,1] op_sel_hi:[1,1,0] neg_lo:[0,0,1] neg_hi:[0,0,1]
	s_delay_alu instid0(VALU_DEP_3) | instskip(NEXT) | instid1(VALU_DEP_3)
	v_div_fixup_f32 v20, v22, v11, 1.0
	v_mov_b32_e32 v15, v21
	s_delay_alu instid0(VALU_DEP_1)
	v_pk_mul_f32 v[14:15], v[20:21], v[14:15] op_sel_hi:[0,1]
	s_cbranch_execz .LBB5_204
	s_branch .LBB5_205
.LBB5_203:                              ;   in Loop: Header=BB5_6 Depth=1
                                        ; implicit-def: $vgpr14_vgpr15
.LBB5_204:                              ;   in Loop: Header=BB5_6 Depth=1
	v_div_scale_f32 v11, null, v16, v16, v17
	v_div_scale_f32 v20, vcc_lo, v17, v16, v17
	s_delay_alu instid0(VALU_DEP_2)
	v_rcp_f32_e32 v14, v11
	v_nop
	v_xor_b32_e32 v11, 0x80000000, v11
	s_delay_alu instid0(TRANS32_DEP_1) | instid1(VALU_DEP_1)
	v_fma_f32 v15, v11, v14, 1.0
	s_delay_alu instid0(VALU_DEP_1) | instskip(NEXT) | instid1(VALU_DEP_1)
	v_fmac_f32_e32 v14, v15, v14
	v_mul_f32_e32 v15, v20, v14
	s_delay_alu instid0(VALU_DEP_1) | instskip(NEXT) | instid1(VALU_DEP_1)
	v_fma_f32 v21, v11, v15, v20
	v_fmac_f32_e32 v15, v21, v14
	s_delay_alu instid0(VALU_DEP_1) | instskip(NEXT) | instid1(VALU_DEP_1)
	v_fmac_f32_e32 v20, v11, v15
	v_div_fmas_f32 v11, v20, v14, v15
	s_delay_alu instid0(VALU_DEP_1) | instskip(NEXT) | instid1(VALU_DEP_1)
	v_div_fixup_f32 v14, v11, v16, v17
	v_fma_f32 v11, v17, v14, v16
	s_delay_alu instid0(VALU_DEP_1) | instskip(SKIP_1) | instid1(VALU_DEP_2)
	v_div_scale_f32 v15, null, v11, v11, 1.0
	v_div_scale_f32 v22, vcc_lo, 1.0, v11, 1.0
	v_rcp_f32_e32 v20, v15
	v_nop
	v_xor_b32_e32 v15, 0x80000000, v15
	s_delay_alu instid0(TRANS32_DEP_1) | instid1(VALU_DEP_1)
	v_fma_f32 v21, v15, v20, 1.0
	s_delay_alu instid0(VALU_DEP_1) | instskip(NEXT) | instid1(VALU_DEP_1)
	v_fmac_f32_e32 v20, v21, v20
	v_mul_f32_e32 v21, v22, v20
	s_delay_alu instid0(VALU_DEP_1) | instskip(NEXT) | instid1(VALU_DEP_1)
	v_fma_f32 v23, v15, v21, v22
	v_fmac_f32_e32 v21, v23, v20
	s_delay_alu instid0(VALU_DEP_1) | instskip(NEXT) | instid1(VALU_DEP_1)
	v_fmac_f32_e32 v22, v15, v21
	v_div_fmas_f32 v22, v22, v20, v21
	v_pk_fma_f32 v[20:21], v[14:15], v[18:19], v[18:19] op_sel:[0,1,0] op_sel_hi:[0,0,1]
	v_pk_fma_f32 v[14:15], v[14:15], v[18:19], v[18:19] op_sel:[0,1,0] op_sel_hi:[1,0,1] neg_lo:[1,0,0] neg_hi:[1,0,0]
	s_delay_alu instid0(VALU_DEP_3) | instskip(NEXT) | instid1(VALU_DEP_3)
	v_div_fixup_f32 v18, v22, v11, 1.0
	v_mov_b32_e32 v15, v21
	s_delay_alu instid0(VALU_DEP_1)
	v_pk_mul_f32 v[14:15], v[18:19], v[14:15] op_sel_hi:[0,1]
.LBB5_205:                              ;   in Loop: Header=BB5_6 Depth=1
	s_delay_alu instid0(VALU_DEP_1) | instskip(NEXT) | instid1(VALU_DEP_2)
	v_dual_mov_b32 v11, v14 :: v_dual_mov_b32 v19, v12
	v_mul_f32_e32 v18, v13, v15
	s_delay_alu instid0(VALU_DEP_2) | instskip(NEXT) | instid1(VALU_DEP_2)
	v_pk_mul_f32 v[20:21], v[12:13], v[10:11]
	v_pk_mul_f32 v[22:23], v[18:19], v[14:15]
	s_delay_alu instid0(VALU_DEP_1) | instskip(SKIP_1) | instid1(VALU_DEP_4)
	v_mov_b32_e32 v11, v23
	v_pk_fma_f32 v[18:19], v[12:13], v[14:15], v[18:19] op_sel_hi:[1,1,0] neg_lo:[1,0,0] neg_hi:[1,0,0]
	v_mov_b32_e32 v19, v21
	s_delay_alu instid0(VALU_DEP_1) | instskip(NEXT) | instid1(VALU_DEP_1)
	v_pk_add_f32 v[18:19], v[18:19], v[10:11]
	v_pk_mul_f32 v[20:21], v[16:17], v[18:19]
	v_pk_mul_f32 v[16:17], v[16:17], v[18:19] op_sel:[0,1] op_sel_hi:[1,0]
	s_delay_alu instid0(VALU_DEP_2) | instskip(NEXT) | instid1(VALU_DEP_2)
	v_sub_f32_e32 v11, v20, v21
	v_add_f32_e32 v18, v16, v17
	s_delay_alu instid0(VALU_DEP_2) | instskip(NEXT) | instid1(VALU_DEP_2)
	v_and_b32_e32 v16, 0x7fffffff, v11
	v_and_b32_e32 v17, 0x7fffffff, v18
	s_delay_alu instid0(VALU_DEP_1)
	v_cmp_ngt_f32_e32 vcc_lo, v16, v17
	s_cbranch_vccz .LBB5_207
; %bb.206:                              ;   in Loop: Header=BB5_6 Depth=1
	v_div_scale_f32 v16, null, v18, v18, v11
	v_div_scale_f32 v20, vcc_lo, v11, v18, v11
	s_delay_alu instid0(VALU_DEP_2)
	v_rcp_f32_e32 v17, v16
	v_nop
	v_xor_b32_e32 v16, 0x80000000, v16
	s_delay_alu instid0(TRANS32_DEP_1) | instid1(VALU_DEP_1)
	v_fma_f32 v19, v16, v17, 1.0
	s_delay_alu instid0(VALU_DEP_1) | instskip(NEXT) | instid1(VALU_DEP_1)
	v_fmac_f32_e32 v17, v19, v17
	v_mul_f32_e32 v19, v20, v17
	s_delay_alu instid0(VALU_DEP_1) | instskip(NEXT) | instid1(VALU_DEP_1)
	v_fma_f32 v21, v16, v19, v20
	v_fmac_f32_e32 v19, v21, v17
	s_delay_alu instid0(VALU_DEP_1) | instskip(NEXT) | instid1(VALU_DEP_1)
	v_fmac_f32_e32 v20, v16, v19
	v_div_fmas_f32 v16, v20, v17, v19
	s_delay_alu instid0(VALU_DEP_1) | instskip(NEXT) | instid1(VALU_DEP_1)
	v_div_fixup_f32 v17, v16, v18, v11
	v_fma_f32 v19, v11, v17, v18
	s_delay_alu instid0(VALU_DEP_1) | instskip(SKIP_1) | instid1(VALU_DEP_2)
	v_div_scale_f32 v16, null, v19, v19, 1.0
	v_div_scale_f32 v23, vcc_lo, 1.0, v19, 1.0
	v_rcp_f32_e32 v22, v16
	v_nop
	v_xor_b32_e32 v16, 0x80000000, v16
	s_delay_alu instid0(TRANS32_DEP_1) | instid1(VALU_DEP_1)
	v_fma_f32 v20, v16, v22, 1.0
	s_delay_alu instid0(VALU_DEP_1) | instskip(NEXT) | instid1(VALU_DEP_1)
	v_fmac_f32_e32 v22, v20, v22
	v_mul_f32_e32 v24, v23, v22
	s_delay_alu instid0(VALU_DEP_1) | instskip(NEXT) | instid1(VALU_DEP_1)
	v_fma_f32 v20, v16, v24, v23
	v_fmac_f32_e32 v24, v20, v22
	v_mov_b64_e32 v[20:21], s[46:47]
	s_delay_alu instid0(VALU_DEP_2) | instskip(NEXT) | instid1(VALU_DEP_1)
	v_dual_fmac_f32 v23, v16, v24 :: v_dual_mul_f32 v16, 0, v17
	v_div_fmas_f32 v22, v23, v22, v24
	s_delay_alu instid0(VALU_DEP_2) | instskip(NEXT) | instid1(VALU_DEP_2)
	v_pk_add_f32 v[16:17], v[16:17], v[20:21]
	v_div_fixup_f32 v22, v22, v19, 1.0
	s_delay_alu instid0(VALU_DEP_1)
	v_pk_mul_f32 v[16:17], v[16:17], v[22:23] op_sel_hi:[1,0]
	s_cbranch_execz .LBB5_208
	s_branch .LBB5_209
.LBB5_207:                              ;   in Loop: Header=BB5_6 Depth=1
                                        ; implicit-def: $vgpr16_vgpr17
.LBB5_208:                              ;   in Loop: Header=BB5_6 Depth=1
	v_div_scale_f32 v16, null, v11, v11, v18
	v_div_scale_f32 v20, vcc_lo, v18, v11, v18
	s_delay_alu instid0(VALU_DEP_2)
	v_rcp_f32_e32 v17, v16
	v_nop
	v_xor_b32_e32 v16, 0x80000000, v16
	s_delay_alu instid0(TRANS32_DEP_1) | instid1(VALU_DEP_1)
	v_fma_f32 v19, v16, v17, 1.0
	s_delay_alu instid0(VALU_DEP_1) | instskip(NEXT) | instid1(VALU_DEP_1)
	v_fmac_f32_e32 v17, v19, v17
	v_mul_f32_e32 v19, v20, v17
	s_delay_alu instid0(VALU_DEP_1) | instskip(NEXT) | instid1(VALU_DEP_1)
	v_fma_f32 v21, v16, v19, v20
	v_fmac_f32_e32 v19, v21, v17
	s_delay_alu instid0(VALU_DEP_1) | instskip(NEXT) | instid1(VALU_DEP_1)
	v_fmac_f32_e32 v20, v16, v19
	v_div_fmas_f32 v16, v20, v17, v19
	s_delay_alu instid0(VALU_DEP_1) | instskip(NEXT) | instid1(VALU_DEP_1)
	v_div_fixup_f32 v16, v16, v11, v18
	v_fmac_f32_e32 v11, v18, v16
	s_delay_alu instid0(VALU_DEP_1) | instskip(SKIP_1) | instid1(VALU_DEP_2)
	v_div_scale_f32 v17, null, v11, v11, 1.0
	v_div_scale_f32 v20, vcc_lo, 1.0, v11, 1.0
	v_rcp_f32_e32 v18, v17
	v_nop
	v_xor_b32_e32 v17, 0x80000000, v17
	s_delay_alu instid0(TRANS32_DEP_1) | instid1(VALU_DEP_1)
	v_fma_f32 v19, v17, v18, 1.0
	s_delay_alu instid0(VALU_DEP_1) | instskip(NEXT) | instid1(VALU_DEP_1)
	v_fmac_f32_e32 v18, v19, v18
	v_mul_f32_e32 v19, v20, v18
	s_delay_alu instid0(VALU_DEP_1) | instskip(NEXT) | instid1(VALU_DEP_1)
	v_fma_f32 v21, v17, v19, v20
	v_fmac_f32_e32 v19, v21, v18
	s_delay_alu instid0(VALU_DEP_1) | instskip(NEXT) | instid1(VALU_DEP_1)
	v_fmac_f32_e32 v20, v17, v19
	v_div_fmas_f32 v17, v20, v18, v19
	v_dual_mul_f32 v19, 0, v16 :: v_dual_sub_f32 v16, 0, v16
	s_delay_alu instid0(VALU_DEP_2) | instskip(NEXT) | instid1(VALU_DEP_2)
	v_div_fixup_f32 v18, v17, v11, 1.0
	v_add_f32_e32 v17, 1.0, v19
	s_delay_alu instid0(VALU_DEP_1)
	v_pk_mul_f32 v[16:17], v[16:17], v[18:19] op_sel_hi:[1,0]
.LBB5_209:                              ;   in Loop: Header=BB5_6 Depth=1
	s_add_co_i32 s5, s34, -2
	s_mov_b32 s7, exec_lo
	v_cmpx_ge_i32_e64 s5, v0
	s_cbranch_execz .LBB5_212
; %bb.210:                              ;   in Loop: Header=BB5_6 Depth=1
	s_add_co_i32 s35, s34, -1
	v_mad_u32 v24, s34, s17, v0
	v_mad_u32 v26, s35, s17, v0
	v_dual_mov_b32 v22, v14 :: v_dual_add_nc_u32 v28, s48, v0
	v_dual_mov_b32 v23, v14 :: v_dual_add_nc_u32 v30, s6, v0
	v_dual_mov_b32 v18, v16 :: v_dual_mov_b32 v19, v16
	s_delay_alu instid0(VALU_DEP_2) | instskip(SKIP_4) | instid1(VALU_DEP_3)
	v_dual_ashrrev_i32 v29, 31, v28 :: v_dual_ashrrev_i32 v31, 31, v30
	v_dual_mov_b32 v20, v12 :: v_dual_mov_b32 v21, v12
	v_dual_ashrrev_i32 v25, 31, v24 :: v_dual_ashrrev_i32 v27, 31, v26
	v_dual_mov_b32 v12, v13 :: v_dual_mov_b32 v16, v17
	v_dual_mov_b32 v14, v15 :: v_dual_mov_b32 v11, v0
	v_lshl_add_u64 v[24:25], v[24:25], 3, s[38:39]
	s_delay_alu instid0(VALU_DEP_4)
	v_lshl_add_u64 v[26:27], v[26:27], 3, s[38:39]
	v_lshl_add_u64 v[28:29], v[28:29], 3, s[36:37]
	;; [unrolled: 1-line block ×3, first 2 shown]
	s_mov_b32 s6, 0
.LBB5_211:                              ;   Parent Loop BB5_6 Depth=1
                                        ; =>  This Inner Loop Header: Depth=2
	global_load_b64 v[36:37], v[30:31], off
	global_load_b64 v[38:39], v[28:29], off
	v_add_nc_u32_e32 v11, 0x100, v11
	s_delay_alu instid0(VALU_DEP_1) | instskip(SKIP_3) | instid1(VALU_DEP_1)
	v_cmp_lt_i32_e32 vcc_lo, s5, v11
	s_or_b32 s6, vcc_lo, s6
	s_wait_loadcnt 0x1
	v_pk_mul_f32 v[40:41], v[20:21], v[36:37] op_sel:[0,1] op_sel_hi:[1,0]
	v_pk_fma_f32 v[42:43], v[12:13], v[36:37], v[40:41]
	v_pk_fma_f32 v[36:37], v[12:13], v[36:37], v[40:41] neg_lo:[0,0,1] neg_hi:[0,0,1]
	s_delay_alu instid0(VALU_DEP_2) | instskip(SKIP_1) | instid1(VALU_DEP_1)
	v_mov_b32_e32 v37, v43
	s_wait_loadcnt 0x0
	v_pk_add_f32 v[36:37], v[36:37], v[38:39] neg_lo:[0,1] neg_hi:[0,1]
	s_delay_alu instid0(VALU_DEP_1) | instskip(NEXT) | instid1(VALU_DEP_1)
	v_pk_mul_f32 v[38:39], v[18:19], v[36:37]
	v_pk_fma_f32 v[40:41], v[16:17], v[36:37], v[38:39] op_sel:[0,0,1] op_sel_hi:[1,1,0]
	v_pk_fma_f32 v[36:37], v[16:17], v[36:37], v[38:39] op_sel:[0,0,1] op_sel_hi:[1,1,0] neg_lo:[0,0,1] neg_hi:[0,0,1]
	s_delay_alu instid0(VALU_DEP_2)
	v_mov_b32_e32 v37, v41
	global_store_b64 v[26:27], v[36:37], off
	global_load_b64 v[36:37], v[28:29], off
	global_load_b64 v[38:39], v[30:31], off
	v_add_nc_u64_e32 v[26:27], 0x800, v[26:27]
	s_wait_xcnt 0x1
	v_add_nc_u64_e32 v[28:29], 0x800, v[28:29]
	s_wait_xcnt 0x0
	v_add_nc_u64_e32 v[30:31], 0x800, v[30:31]
	s_wait_loadcnt 0x1
	v_pk_mul_f32 v[40:41], v[22:23], v[36:37] op_sel:[0,1] op_sel_hi:[1,0]
	s_delay_alu instid0(VALU_DEP_1) | instskip(SKIP_1) | instid1(VALU_DEP_2)
	v_pk_fma_f32 v[42:43], v[14:15], v[36:37], v[40:41]
	v_pk_fma_f32 v[36:37], v[14:15], v[36:37], v[40:41] neg_lo:[0,0,1] neg_hi:[0,0,1]
	v_mov_b32_e32 v37, v43
	s_wait_loadcnt 0x0
	s_delay_alu instid0(VALU_DEP_1) | instskip(NEXT) | instid1(VALU_DEP_1)
	v_pk_add_f32 v[36:37], v[36:37], v[38:39] neg_lo:[0,1] neg_hi:[0,1]
	v_pk_mul_f32 v[38:39], v[18:19], v[36:37]
	s_delay_alu instid0(VALU_DEP_1) | instskip(SKIP_1) | instid1(VALU_DEP_2)
	v_pk_fma_f32 v[40:41], v[16:17], v[36:37], v[38:39] op_sel:[0,0,1] op_sel_hi:[1,1,0]
	v_pk_fma_f32 v[36:37], v[16:17], v[36:37], v[38:39] op_sel:[0,0,1] op_sel_hi:[1,1,0] neg_lo:[0,0,1] neg_hi:[0,0,1]
	v_mov_b32_e32 v37, v41
	global_store_b64 v[24:25], v[36:37], off
	s_wait_xcnt 0x0
	v_add_nc_u64_e32 v[24:25], 0x800, v[24:25]
	s_and_not1_b32 exec_lo, exec_lo, s6
	s_cbranch_execnz .LBB5_211
.LBB5_212:                              ;   in Loop: Header=BB5_6 Depth=1
	s_or_b32 exec_lo, exec_lo, s7
.LBB5_213:                              ;   in Loop: Header=BB5_6 Depth=1
	s_and_saveexec_b32 s5, s2
	s_cbranch_execz .LBB5_215
; %bb.214:                              ;   in Loop: Header=BB5_6 Depth=1
	s_add_co_i32 s6, s61, -1
	s_ashr_i32 s35, s34, 31
	s_mul_i32 s6, s6, s18
	s_ashr_i32 s49, s48, 31
	s_ashr_i32 s7, s6, 31
	s_delay_alu instid0(SALU_CYCLE_1) | instskip(NEXT) | instid1(SALU_CYCLE_1)
	s_add_nc_u64 s[6:7], s[6:7], s[34:35]
	s_lshl_b64 s[6:7], s[6:7], 3
	s_delay_alu instid0(SALU_CYCLE_1) | instskip(SKIP_3) | instid1(SALU_CYCLE_1)
	s_add_nc_u64 s[6:7], s[36:37], s[6:7]
	global_load_b64 v[12:13], v3, s[6:7] offset:-8
	s_wait_xcnt 0x0
	s_add_co_i32 s6, s34, -1
	s_mul_i32 s6, s6, s55
	s_delay_alu instid0(SALU_CYCLE_1) | instskip(SKIP_1) | instid1(SALU_CYCLE_1)
	v_mov_b32_e32 v11, s6
	s_add_nc_u64 s[6:7], s[48:49], s[34:35]
	s_lshl_b64 s[6:7], s[6:7], 3
	s_delay_alu instid0(SALU_CYCLE_1)
	s_add_nc_u64 s[6:7], s[36:37], s[6:7]
	s_wait_loadcnt 0x0
	global_store_b64 v11, v[12:13], s[20:21] scale_offset
	global_load_b64 v[12:13], v3, s[6:7] offset:-8
	s_wait_xcnt 0x0
	s_mul_i32 s6, s34, s17
	s_delay_alu instid0(SALU_CYCLE_1) | instskip(NEXT) | instid1(SALU_CYCLE_1)
	s_ashr_i32 s7, s6, 31
	s_add_nc_u64 s[52:53], s[34:35], s[6:7]
	s_add_co_i32 s7, s48, s34
	s_lshl_b64 s[52:53], s[52:53], 3
	v_mov_b32_e32 v11, s7
	s_add_nc_u64 s[52:53], s[20:21], s[52:53]
	s_add_co_i32 s6, s6, s34
	s_wait_loadcnt 0x0
	global_store_b64 v3, v[12:13], s[52:53] offset:-8
	global_load_b64 v[12:13], v11, s[36:37] scale_offset
	s_wait_xcnt 0x0
	v_mov_b32_e32 v11, s6
	s_wait_loadcnt 0x0
	global_store_b64 v11, v[12:13], s[20:21] scale_offset
.LBB5_215:                              ;   in Loop: Header=BB5_6 Depth=1
	s_wait_xcnt 0x0
	s_or_b32 exec_lo, exec_lo, s5
	s_mov_b32 s7, 0
	s_wait_storecnt 0x0
	s_barrier_signal -1
	s_barrier_wait -1
.LBB5_216:                              ;   in Loop: Header=BB5_6 Depth=1
	s_mov_b32 s5, 0
	s_mov_b32 s6, -2
	s_and_b32 vcc_lo, exec_lo, s7
	s_mov_b32 s7, 0
	s_cbranch_vccz .LBB5_227
; %bb.217:                              ;   in Loop: Header=BB5_6 Depth=1
	s_add_co_i32 s6, s48, s34
	s_delay_alu instid0(SALU_CYCLE_1) | instskip(SKIP_4) | instid1(VALU_DEP_1)
	v_mov_b32_e32 v11, s6
	global_load_b64 v[12:13], v11, s[36:37] scale_offset
	s_wait_loadcnt 0x0
	v_and_b32_e32 v11, 0x7fffffff, v12
	v_and_b32_e32 v14, 0x7fffffff, v13
	v_cmp_ngt_f32_e32 vcc_lo, v11, v14
	s_cbranch_vccz .LBB5_219
; %bb.218:                              ;   in Loop: Header=BB5_6 Depth=1
	v_div_scale_f32 v11, null, v13, v13, v12
	v_div_scale_f32 v16, vcc_lo, v12, v13, v12
	s_delay_alu instid0(VALU_DEP_2)
	v_rcp_f32_e32 v14, v11
	v_nop
	v_xor_b32_e32 v11, 0x80000000, v11
	s_delay_alu instid0(TRANS32_DEP_1) | instid1(VALU_DEP_1)
	v_fma_f32 v15, v11, v14, 1.0
	s_delay_alu instid0(VALU_DEP_1) | instskip(NEXT) | instid1(VALU_DEP_1)
	v_fmac_f32_e32 v14, v15, v14
	v_mul_f32_e32 v15, v16, v14
	s_delay_alu instid0(VALU_DEP_1) | instskip(NEXT) | instid1(VALU_DEP_1)
	v_fma_f32 v17, v11, v15, v16
	v_fmac_f32_e32 v15, v17, v14
	s_delay_alu instid0(VALU_DEP_1) | instskip(NEXT) | instid1(VALU_DEP_1)
	v_fmac_f32_e32 v16, v11, v15
	v_div_fmas_f32 v11, v16, v14, v15
	s_delay_alu instid0(VALU_DEP_1) | instskip(NEXT) | instid1(VALU_DEP_1)
	v_div_fixup_f32 v15, v11, v13, v12
	v_fma_f32 v11, v12, v15, v13
	s_delay_alu instid0(VALU_DEP_1) | instskip(SKIP_1) | instid1(VALU_DEP_2)
	v_div_scale_f32 v14, null, v11, v11, 1.0
	v_div_scale_f32 v19, vcc_lo, 1.0, v11, 1.0
	v_rcp_f32_e32 v18, v14
	v_nop
	v_xor_b32_e32 v14, 0x80000000, v14
	s_delay_alu instid0(TRANS32_DEP_1) | instid1(VALU_DEP_1)
	v_fma_f32 v16, v14, v18, 1.0
	s_delay_alu instid0(VALU_DEP_1) | instskip(NEXT) | instid1(VALU_DEP_1)
	v_fmac_f32_e32 v18, v16, v18
	v_mul_f32_e32 v20, v19, v18
	s_delay_alu instid0(VALU_DEP_1) | instskip(NEXT) | instid1(VALU_DEP_1)
	v_fma_f32 v16, v14, v20, v19
	v_fmac_f32_e32 v20, v16, v18
	v_mov_b64_e32 v[16:17], s[46:47]
	s_delay_alu instid0(VALU_DEP_2) | instskip(NEXT) | instid1(VALU_DEP_1)
	v_dual_fmac_f32 v19, v14, v20 :: v_dual_mul_f32 v14, 0, v15
	v_div_fmas_f32 v18, v19, v18, v20
	s_delay_alu instid0(VALU_DEP_2) | instskip(NEXT) | instid1(VALU_DEP_2)
	v_pk_add_f32 v[14:15], v[14:15], v[16:17]
	v_div_fixup_f32 v18, v18, v11, 1.0
	s_delay_alu instid0(VALU_DEP_1)
	v_pk_mul_f32 v[14:15], v[14:15], v[18:19] op_sel_hi:[1,0]
	s_cbranch_execz .LBB5_220
	s_branch .LBB5_221
.LBB5_219:                              ;   in Loop: Header=BB5_6 Depth=1
                                        ; implicit-def: $vgpr14_vgpr15
.LBB5_220:                              ;   in Loop: Header=BB5_6 Depth=1
	v_div_scale_f32 v11, null, v12, v12, v13
	v_div_scale_f32 v16, vcc_lo, v13, v12, v13
	s_delay_alu instid0(VALU_DEP_2)
	v_rcp_f32_e32 v14, v11
	v_nop
	v_xor_b32_e32 v11, 0x80000000, v11
	s_delay_alu instid0(TRANS32_DEP_1) | instid1(VALU_DEP_1)
	v_fma_f32 v15, v11, v14, 1.0
	s_delay_alu instid0(VALU_DEP_1) | instskip(NEXT) | instid1(VALU_DEP_1)
	v_fmac_f32_e32 v14, v15, v14
	v_mul_f32_e32 v15, v16, v14
	s_delay_alu instid0(VALU_DEP_1) | instskip(NEXT) | instid1(VALU_DEP_1)
	v_fma_f32 v17, v11, v15, v16
	v_fmac_f32_e32 v15, v17, v14
	s_delay_alu instid0(VALU_DEP_1) | instskip(NEXT) | instid1(VALU_DEP_1)
	v_fmac_f32_e32 v16, v11, v15
	v_div_fmas_f32 v11, v16, v14, v15
	s_delay_alu instid0(VALU_DEP_1) | instskip(NEXT) | instid1(VALU_DEP_1)
	v_div_fixup_f32 v11, v11, v12, v13
	v_fma_f32 v15, v13, v11, v12
	s_delay_alu instid0(VALU_DEP_1) | instskip(SKIP_1) | instid1(VALU_DEP_2)
	v_div_scale_f32 v14, null, v15, v15, 1.0
	v_div_scale_f32 v18, vcc_lo, 1.0, v15, 1.0
	v_rcp_f32_e32 v16, v14
	v_nop
	v_xor_b32_e32 v14, 0x80000000, v14
	s_delay_alu instid0(TRANS32_DEP_1) | instid1(VALU_DEP_1)
	v_fma_f32 v17, v14, v16, 1.0
	s_delay_alu instid0(VALU_DEP_1) | instskip(NEXT) | instid1(VALU_DEP_1)
	v_fmac_f32_e32 v16, v17, v16
	v_mul_f32_e32 v17, v18, v16
	s_delay_alu instid0(VALU_DEP_1) | instskip(NEXT) | instid1(VALU_DEP_1)
	v_fma_f32 v19, v14, v17, v18
	v_fmac_f32_e32 v17, v19, v16
	s_delay_alu instid0(VALU_DEP_1) | instskip(NEXT) | instid1(VALU_DEP_1)
	v_dual_fmac_f32 v18, v14, v17 :: v_dual_sub_f32 v14, 0, v11
	v_div_fmas_f32 v16, v18, v16, v17
	v_mul_f32_e32 v17, 0, v11
	s_delay_alu instid0(VALU_DEP_2) | instskip(NEXT) | instid1(VALU_DEP_2)
	v_div_fixup_f32 v16, v16, v15, 1.0
	v_add_f32_e32 v15, 1.0, v17
	s_delay_alu instid0(VALU_DEP_1)
	v_pk_mul_f32 v[14:15], v[14:15], v[16:17] op_sel_hi:[1,0]
.LBB5_221:                              ;   in Loop: Header=BB5_6 Depth=1
	s_and_saveexec_b32 s6, s2
	s_cbranch_execnz .LBB5_223
; %bb.222:                              ;   in Loop: Header=BB5_6 Depth=1
	s_or_b32 exec_lo, exec_lo, s6
	s_and_saveexec_b32 s6, s4
	s_cbranch_execnz .LBB5_224
	s_branch .LBB5_226
.LBB5_223:                              ;   in Loop: Header=BB5_6 Depth=1
	s_mul_i32 s7, s34, s55
	s_delay_alu instid0(SALU_CYCLE_1)
	v_mov_b32_e32 v11, s7
	global_store_b64 v11, v[12:13], s[20:21] scale_offset
	s_wait_xcnt 0x0
	s_or_b32 exec_lo, exec_lo, s6
	s_and_saveexec_b32 s6, s4
	s_cbranch_execz .LBB5_226
.LBB5_224:                              ;   in Loop: Header=BB5_6 Depth=1
	v_mad_u32 v18, s34, s17, v0
	v_dual_mov_b32 v13, v14 :: v_dual_add_nc_u32 v16, s48, v0
	v_mov_b32_e32 v11, v0
	s_mov_b32 s4, 0
	v_dual_mov_b32 v12, v14 :: v_dual_mov_b32 v14, v15
	s_delay_alu instid0(VALU_DEP_3) | instskip(NEXT) | instid1(VALU_DEP_1)
	v_dual_ashrrev_i32 v19, 31, v18 :: v_dual_ashrrev_i32 v17, 31, v16
	v_lshl_add_u64 v[18:19], v[18:19], 3, s[38:39]
	s_delay_alu instid0(VALU_DEP_2)
	v_lshl_add_u64 v[16:17], v[16:17], 3, s[36:37]
.LBB5_225:                              ;   Parent Loop BB5_6 Depth=1
                                        ; =>  This Inner Loop Header: Depth=2
	global_load_b64 v[20:21], v[16:17], off
	v_add_nc_u32_e32 v11, 0x100, v11
	s_wait_xcnt 0x0
	v_add_nc_u64_e32 v[16:17], 0x800, v[16:17]
	s_delay_alu instid0(VALU_DEP_2) | instskip(SKIP_3) | instid1(VALU_DEP_1)
	v_cmp_le_i32_e32 vcc_lo, s34, v11
	s_or_b32 s4, vcc_lo, s4
	s_wait_loadcnt 0x0
	v_pk_mul_f32 v[22:23], v[12:13], v[20:21] op_sel:[0,1] op_sel_hi:[1,0]
	v_pk_fma_f32 v[24:25], v[14:15], v[20:21], v[22:23]
	v_pk_fma_f32 v[20:21], v[14:15], v[20:21], v[22:23] neg_lo:[0,0,1] neg_hi:[0,0,1]
	s_delay_alu instid0(VALU_DEP_2)
	v_mov_b32_e32 v21, v25
	global_store_b64 v[18:19], v[20:21], off
	s_wait_xcnt 0x0
	v_add_nc_u64_e32 v[18:19], 0x800, v[18:19]
	s_and_not1_b32 exec_lo, exec_lo, s4
	s_cbranch_execnz .LBB5_225
.LBB5_226:                              ;   in Loop: Header=BB5_6 Depth=1
	s_or_b32 exec_lo, exec_lo, s6
	s_wait_storecnt 0x0
	s_barrier_signal -1
	s_barrier_wait -1
	s_mov_b32 s7, -1
	s_mov_b32 s6, -1
.LBB5_227:                              ;   in Loop: Header=BB5_6 Depth=1
	s_and_b32 vcc_lo, exec_lo, s5
	s_cbranch_vccz .LBB5_231
; %bb.228:                              ;   in Loop: Header=BB5_6 Depth=1
	ds_load_b32 v11, v3 offset:2052
	s_wait_dscnt 0x0
	v_readfirstlane_b32 s4, v11
	s_cmp_eq_u32 s4, 0
	s_cselect_b32 s4, -1, 0
	s_delay_alu instid0(SALU_CYCLE_1) | instskip(NEXT) | instid1(SALU_CYCLE_1)
	s_and_b32 s5, s2, s4
	s_and_saveexec_b32 s4, s5
; %bb.229:                              ;   in Loop: Header=BB5_6 Depth=1
	s_add_co_i32 s5, s34, 1
	s_delay_alu instid0(SALU_CYCLE_1)
	v_mov_b32_e32 v11, s5
	ds_store_b32 v3, v11 offset:2052
; %bb.230:                              ;   in Loop: Header=BB5_6 Depth=1
	s_or_b32 exec_lo, exec_lo, s4
	s_mov_b32 s6, -1
	s_mov_b32 s7, -1
	s_mov_b32 s51, s34
.LBB5_231:                              ;   in Loop: Header=BB5_6 Depth=1
	s_and_saveexec_b32 s48, s2
	s_cbranch_execz .LBB5_4
; %bb.232:                              ;   in Loop: Header=BB5_6 Depth=1
	s_mov_b32 s35, s59
	s_xor_b32 s7, s7, -1
	s_lshl_b64 s[4:5], s[34:35], 2
	s_and_b32 vcc_lo, exec_lo, s7
	s_add_nc_u64 s[4:5], s[8:9], s[4:5]
	s_mov_b32 s7, -1
	s_cbranch_vccz .LBB5_234
; %bb.233:                              ;   in Loop: Header=BB5_6 Depth=1
	s_not_b32 s7, s51
	s_delay_alu instid0(SALU_CYCLE_1)
	v_dual_mov_b32 v12, s7 :: v_dual_mov_b32 v13, s7
	s_mov_b32 s7, 0
	global_store_b64 v3, v[12:13], s[4:5] offset:-4
.LBB5_234:                              ;   in Loop: Header=BB5_6 Depth=1
	s_and_not1_b32 vcc_lo, exec_lo, s7
	s_cbranch_vccnz .LBB5_4
; %bb.235:                              ;   in Loop: Header=BB5_6 Depth=1
	s_add_co_i32 s7, s51, 1
	s_delay_alu instid0(SALU_CYCLE_1)
	v_mov_b32_e32 v11, s7
	global_store_b32 v3, v11, s[4:5]
	s_branch .LBB5_4
.LBB5_236:
	s_add_co_i32 s1, s61, 1
.LBB5_237:
	s_and_saveexec_b32 s0, s2
	s_cbranch_execz .LBB5_239
; %bb.238:
	s_not_b32 s2, s34
	s_delay_alu instid0(SALU_CYCLE_1) | instskip(NEXT) | instid1(SALU_CYCLE_1)
	s_add_co_i32 s2, s18, s2
	v_dual_mov_b32 v3, 0 :: v_dual_mov_b32 v5, s2
	s_lshl_b64 s[2:3], s[30:31], 2
	s_delay_alu instid0(SALU_CYCLE_1)
	s_add_nc_u64 s[4:5], s[12:13], s[2:3]
	ds_load_b32 v4, v3 offset:2052
	s_add_nc_u64 s[2:3], s[10:11], s[2:3]
	global_store_b32 v3, v5, s[4:5]
	s_wait_dscnt 0x0
	global_store_b32 v3, v4, s[2:3]
.LBB5_239:
	s_wait_xcnt 0x0
	s_or_b32 exec_lo, exec_lo, s0
	s_abs_i32 s0, s19
	s_abs_i32 s4, s34
	s_cvt_f32_u32 s2, s0
	s_sub_co_i32 s3, 0, s0
	s_delay_alu instid0(SALU_CYCLE_2) | instskip(SKIP_1) | instid1(TRANS32_DEP_1)
	v_rcp_iflag_f32_e32 v3, s2
	v_nop
	v_readfirstlane_b32 s2, v3
	s_mul_f32 s2, s2, 0x4f7ffffe
	s_delay_alu instid0(SALU_CYCLE_3) | instskip(NEXT) | instid1(SALU_CYCLE_3)
	s_cvt_u32_f32 s2, s2
	s_mul_i32 s3, s3, s2
	s_delay_alu instid0(SALU_CYCLE_1) | instskip(NEXT) | instid1(SALU_CYCLE_1)
	s_mul_hi_u32 s3, s2, s3
	s_add_co_i32 s2, s2, s3
	s_ashr_i32 s3, s34, 31
	s_mul_hi_u32 s2, s4, s2
	s_delay_alu instid0(SALU_CYCLE_1) | instskip(NEXT) | instid1(SALU_CYCLE_1)
	s_mul_i32 s2, s2, s0
	s_sub_co_i32 s2, s4, s2
	s_delay_alu instid0(SALU_CYCLE_1) | instskip(SKIP_2) | instid1(SALU_CYCLE_1)
	s_sub_co_i32 s4, s2, s0
	s_cmp_ge_u32 s2, s0
	s_cselect_b32 s2, s4, s2
	s_sub_co_i32 s4, s2, s0
	s_cmp_ge_u32 s2, s0
	s_cselect_b32 s0, s4, s2
	s_add_co_i32 s30, s34, 1
	s_xor_b32 s0, s0, s3
	s_delay_alu instid0(SALU_CYCLE_1) | instskip(SKIP_2) | instid1(SALU_CYCLE_1)
	s_sub_co_i32 s0, s3, s0
	s_mov_b32 s3, 0
	s_add_co_i32 s0, s34, s0
	s_cmp_lt_i32 s0, 0
	s_cbranch_scc1 .LBB5_259
; %bb.240:
	s_not_b32 s2, s34
	s_mul_i32 s4, s30, s17
	s_mul_i32 s6, s1, s18
	s_add_co_i32 s31, s18, s2
	s_ashr_i32 s5, s4, 31
	s_ashr_i32 s7, s6, 31
	s_cmp_gt_i32 s31, 0
	s_add_nc_u64 s[12:13], s[26:27], s[24:25]
	s_cselect_b32 s33, -1, 0
	s_lshl_b64 s[10:11], s[28:29], 3
	s_lshl_b64 s[6:7], s[6:7], 3
	v_mov_b32_e32 v3, 0
	s_add_nc_u64 s[6:7], s[10:11], s[6:7]
	s_lshl_b64 s[10:11], s[4:5], 3
	s_add_nc_u64 s[6:7], s[22:23], s[6:7]
	s_add_nc_u64 s[4:5], s[20:21], s[10:11]
	;; [unrolled: 1-line block ×3, first 2 shown]
	s_ashr_i32 s13, s18, 31
	s_add_nc_u64 s[10:11], s[14:15], s[10:11]
	s_mov_b32 s12, s18
	v_add_nc_u64_e32 v[4:5], s[10:11], v[2:3]
	s_ashr_i32 s15, s17, 31
	s_mov_b32 s14, s17
	s_add_nc_u64 s[6:7], s[6:7], 4
	s_lshl_b64 s[10:11], s[12:13], 3
	s_lshl_b64 s[12:13], s[14:15], 3
	s_branch .LBB5_242
.LBB5_241:                              ;   in Loop: Header=BB5_242 Depth=1
	s_or_b32 exec_lo, exec_lo, s24
	s_sub_co_i32 s0, s0, s19
	s_delay_alu instid0(SALU_CYCLE_1)
	s_cmp_gt_i32 s0, -1
	s_cbranch_scc0 .LBB5_259
.LBB5_242:                              ; =>This Loop Header: Depth=1
                                        ;     Child Loop BB5_245 Depth 2
                                        ;       Child Loop BB5_249 Depth 3
                                        ;         Child Loop BB5_251 Depth 4
                                        ;     Child Loop BB5_256 Depth 2
                                        ;       Child Loop BB5_258 Depth 3
	s_sub_co_i32 s2, s30, s0
	s_mov_b32 s1, s3
	s_min_i32 s2, s2, s19
	s_lshl_b64 s[22:23], s[0:1], 3
	s_cmp_lt_i32 s2, 1
	s_add_nc_u64 s[14:15], s[6:7], s[22:23]
	s_cbranch_scc1 .LBB5_252
; %bb.243:                              ;   in Loop: Header=BB5_242 Depth=1
	v_add_nc_u64_e32 v[6:7], s[22:23], v[4:5]
	s_add_co_i32 s1, s2, s0
	s_add_nc_u64 s[22:23], s[20:21], s[22:23]
	s_mov_b64 s[24:25], s[14:15]
	s_mov_b32 s34, s0
	s_branch .LBB5_245
.LBB5_244:                              ;   in Loop: Header=BB5_245 Depth=2
	s_or_b32 exec_lo, exec_lo, s36
	s_add_co_i32 s34, s34, 1
	s_add_nc_u64 s[24:25], s[24:25], 8
	s_cmp_lt_i32 s34, s1
	s_cbranch_scc0 .LBB5_252
.LBB5_245:                              ;   Parent Loop BB5_242 Depth=1
                                        ; =>  This Loop Header: Depth=2
                                        ;       Child Loop BB5_249 Depth 3
                                        ;         Child Loop BB5_251 Depth 4
	s_sub_co_i32 s35, s34, s0
	s_mov_b32 s36, exec_lo
	v_cmpx_ge_i32_e64 s35, v0
	s_cbranch_execz .LBB5_244
; %bb.246:                              ;   in Loop: Header=BB5_245 Depth=2
	s_mul_i32 s26, s34, s17
	v_mov_b64_e32 v[8:9], v[6:7]
	s_ashr_i32 s27, s26, 31
	v_mov_b32_e32 v2, v0
	s_lshl_b64 s[26:27], s[26:27], 3
	s_mov_b32 s37, 0
	s_add_nc_u64 s[26:27], s[22:23], s[26:27]
	s_branch .LBB5_249
.LBB5_247:                              ;   in Loop: Header=BB5_249 Depth=3
	v_mov_b32_e32 v10, 0
.LBB5_248:                              ;   in Loop: Header=BB5_249 Depth=3
	global_load_b64 v[12:13], v2, s[26:27] scale_offset
	v_mov_b32_e32 v16, v11
	v_xor_b32_e32 v14, 0x80000000, v10
	v_mul_f32_e32 v19, 0, v10
	v_add_nc_u64_e32 v[8:9], 0x800, v[8:9]
	s_wait_loadcnt 0x0
	v_dual_mov_b32 v17, v12 :: v_dual_mov_b32 v18, v12
	v_dual_mov_b32 v15, v13 :: v_dual_mul_f32 v10, 0, v13
	s_delay_alu instid0(VALU_DEP_2) | instskip(NEXT) | instid1(VALU_DEP_2)
	v_pk_fma_f32 v[12:13], v[16:17], 0, v[12:13] op_sel_hi:[1,0,1]
	v_pk_fma_f32 v[14:15], v[16:17], 0, v[14:15] op_sel_hi:[1,0,1] neg_lo:[1,0,0] neg_hi:[1,0,0]
	s_delay_alu instid0(VALU_DEP_3) | instskip(NEXT) | instid1(VALU_DEP_3)
	v_pk_add_f32 v[10:11], v[18:19], v[10:11] neg_lo:[0,1] neg_hi:[0,1]
	v_mov_b32_e32 v15, v13
	s_delay_alu instid0(VALU_DEP_1) | instskip(SKIP_3) | instid1(VALU_DEP_1)
	v_pk_add_f32 v[10:11], v[14:15], v[10:11]
	global_store_b64 v2, v[10:11], s[26:27] scale_offset
	s_wait_xcnt 0x0
	v_add_nc_u32_e32 v2, 0x100, v2
	v_cmp_lt_i32_e32 vcc_lo, s35, v2
	s_or_b32 s37, vcc_lo, s37
	s_delay_alu instid0(SALU_CYCLE_1)
	s_and_not1_b32 exec_lo, exec_lo, s37
	s_cbranch_execz .LBB5_244
.LBB5_249:                              ;   Parent Loop BB5_242 Depth=1
                                        ;     Parent Loop BB5_245 Depth=2
                                        ; =>    This Loop Header: Depth=3
                                        ;         Child Loop BB5_251 Depth 4
	v_mov_b32_e32 v11, 0
	s_and_not1_b32 vcc_lo, exec_lo, s33
	s_cbranch_vccnz .LBB5_247
; %bb.250:                              ;   in Loop: Header=BB5_249 Depth=3
	v_mov_b64_e32 v[12:13], v[8:9]
	v_mov_b32_e32 v10, 0
	s_mov_b64 s[28:29], s[24:25]
	s_mov_b32 s38, s31
.LBB5_251:                              ;   Parent Loop BB5_242 Depth=1
                                        ;     Parent Loop BB5_245 Depth=2
                                        ;       Parent Loop BB5_249 Depth=3
                                        ; =>      This Inner Loop Header: Depth=4
	global_load_b64 v[14:15], v[12:13], off
	global_load_b64 v[16:17], v3, s[28:29] offset:-4
	s_wait_xcnt 0x1
	v_add_nc_u64_e32 v[12:13], s[12:13], v[12:13]
	s_add_co_i32 s38, s38, -1
	s_wait_xcnt 0x0
	s_add_nc_u64 s[28:29], s[28:29], s[10:11]
	s_cmp_eq_u32 s38, 0
	s_wait_loadcnt 0x0
	v_dual_mul_f32 v18, v17, v15 :: v_dual_mul_f32 v15, v16, v15
	s_delay_alu instid0(VALU_DEP_1) | instskip(NEXT) | instid1(VALU_DEP_1)
	v_dual_fma_f32 v16, v16, v14, -v18 :: v_dual_fmac_f32 v15, v17, v14
	v_dual_add_f32 v10, v10, v16 :: v_dual_add_f32 v11, v11, v15
	s_cbranch_scc0 .LBB5_251
	s_branch .LBB5_248
.LBB5_252:                              ;   in Loop: Header=BB5_242 Depth=1
	s_mul_i32 s1, s2, s0
	s_mov_b32 s24, exec_lo
	v_cmpx_gt_i32_e64 s1, v0
	s_cbranch_execz .LBB5_241
; %bb.253:                              ;   in Loop: Header=BB5_242 Depth=1
	s_cvt_f32_u32 s2, s0
	s_mul_i32 s22, s0, s17
	s_sub_co_i32 s25, 0, s0
	s_ashr_i32 s23, s22, 31
	v_rcp_iflag_f32_e32 v2, s2
	s_lshl_b64 s[22:23], s[22:23], 3
	s_delay_alu instid0(SALU_CYCLE_1) | instskip(SKIP_1) | instid1(TRANS32_DEP_1)
	s_add_nc_u64 s[22:23], s[20:21], s[22:23]
	v_nop
	v_readfirstlane_b32 s2, v2
	v_mov_b32_e32 v2, v0
	s_mul_f32 s2, s2, 0x4f7ffffe
	s_delay_alu instid0(SALU_CYCLE_3) | instskip(NEXT) | instid1(SALU_CYCLE_3)
	s_cvt_u32_f32 s2, s2
	s_mul_i32 s25, s25, s2
	s_delay_alu instid0(SALU_CYCLE_1)
	s_mul_hi_u32 s26, s2, s25
	s_mov_b32 s25, 0
	s_add_co_i32 s2, s2, s26
	s_branch .LBB5_256
.LBB5_254:                              ;   in Loop: Header=BB5_256 Depth=2
	v_dual_mov_b32 v7, 0 :: v_dual_mov_b32 v9, 0
.LBB5_255:                              ;   in Loop: Header=BB5_256 Depth=2
	s_delay_alu instid0(VALU_DEP_2) | instskip(NEXT) | instid1(VALU_DEP_2)
	v_mad_u32 v16, v8, s17, v6
	v_dual_mul_f32 v13, 0, v9 :: v_dual_mov_b32 v14, v7
	v_xor_b32_e32 v8, 0x80000000, v9
	global_load_b64 v[10:11], v16, s[22:23] scale_offset
	s_wait_loadcnt 0x0
	v_dual_mov_b32 v15, v10 :: v_dual_mul_f32 v6, 0, v11
	v_dual_mov_b32 v12, v10 :: v_dual_mov_b32 v9, v11
	s_delay_alu instid0(VALU_DEP_2) | instskip(SKIP_1) | instid1(VALU_DEP_3)
	v_pk_fma_f32 v[10:11], v[14:15], 0, v[10:11] op_sel_hi:[1,0,1]
	v_add_nc_u32_e32 v2, 0x100, v2
	v_pk_add_f32 v[6:7], v[12:13], v[6:7] neg_lo:[0,1] neg_hi:[0,1]
	s_delay_alu instid0(VALU_DEP_4) | instskip(NEXT) | instid1(VALU_DEP_4)
	v_pk_fma_f32 v[8:9], v[14:15], 0, v[8:9] op_sel_hi:[1,0,1] neg_lo:[1,0,0] neg_hi:[1,0,0]
	v_mov_b32_e32 v9, v11
	s_delay_alu instid0(VALU_DEP_4) | instskip(NEXT) | instid1(VALU_DEP_2)
	v_cmp_le_i32_e32 vcc_lo, s1, v2
	v_pk_add_f32 v[6:7], v[8:9], v[6:7]
	s_or_b32 s25, vcc_lo, s25
	global_store_b64 v16, v[6:7], s[22:23] scale_offset
	s_wait_xcnt 0x0
	s_and_not1_b32 exec_lo, exec_lo, s25
	s_cbranch_execz .LBB5_241
.LBB5_256:                              ;   Parent Loop BB5_242 Depth=1
                                        ; =>  This Loop Header: Depth=2
                                        ;       Child Loop BB5_258 Depth 3
	v_mul_u64_e32 v[6:7], s[2:3], v[2:3]
	s_delay_alu instid0(VALU_DEP_1) | instskip(NEXT) | instid1(VALU_DEP_1)
	v_mul_lo_u32 v6, v7, s0
	v_dual_add_nc_u32 v8, 1, v7 :: v_dual_sub_nc_u32 v6, v2, v6
	s_delay_alu instid0(VALU_DEP_1) | instskip(SKIP_1) | instid1(VALU_DEP_2)
	v_subrev_nc_u32_e32 v9, s0, v6
	v_cmp_le_u32_e32 vcc_lo, s0, v6
	v_dual_cndmask_b32 v7, v7, v8 :: v_dual_cndmask_b32 v6, v6, v9
	s_delay_alu instid0(VALU_DEP_1) | instskip(NEXT) | instid1(VALU_DEP_2)
	v_add_nc_u32_e32 v8, 1, v7
	v_cmp_le_u32_e32 vcc_lo, s0, v6
	s_delay_alu instid0(VALU_DEP_2) | instskip(SKIP_1) | instid1(VALU_DEP_1)
	v_cndmask_b32_e32 v8, v7, v8, vcc_lo
	s_and_not1_b32 vcc_lo, exec_lo, s33
	v_mul_lo_u32 v6, v8, s0
	s_delay_alu instid0(VALU_DEP_1)
	v_sub_nc_u32_e32 v6, v2, v6
	s_cbranch_vccnz .LBB5_254
; %bb.257:                              ;   in Loop: Header=BB5_256 Depth=2
	v_dual_ashrrev_i32 v9, 31, v8 :: v_dual_mov_b32 v7, 0
	s_delay_alu instid0(VALU_DEP_2) | instskip(SKIP_1) | instid1(VALU_DEP_2)
	v_mov_b32_e32 v12, v6
	s_mov_b32 s26, s31
	v_lshl_add_u64 v[10:11], v[8:9], 3, s[14:15]
	v_mov_b32_e32 v9, 0
.LBB5_258:                              ;   Parent Loop BB5_242 Depth=1
                                        ;     Parent Loop BB5_256 Depth=2
                                        ; =>    This Inner Loop Header: Depth=3
	global_load_b64 v[14:15], v12, s[4:5] scale_offset
	global_load_b64 v[16:17], v[10:11], off offset:-4
	s_wait_xcnt 0x0
	v_add_nc_u64_e32 v[10:11], s[10:11], v[10:11]
	s_add_co_i32 s26, s26, -1
	s_delay_alu instid0(SALU_CYCLE_1) | instskip(SKIP_2) | instid1(VALU_DEP_1)
	s_cmp_eq_u32 s26, 0
	s_wait_loadcnt 0x0
	v_dual_mul_f32 v13, v17, v15 :: v_dual_mul_f32 v15, v16, v15
	v_dual_fma_f32 v13, v16, v14, -v13 :: v_dual_fmac_f32 v15, v17, v14
	s_delay_alu instid0(VALU_DEP_1) | instskip(NEXT) | instid1(VALU_DEP_2)
	v_dual_add_f32 v9, v9, v13 :: v_dual_add_nc_u32 v12, s17, v12
	v_add_f32_e32 v7, v7, v15
	s_cbranch_scc0 .LBB5_258
	s_branch .LBB5_255
.LBB5_259:
	s_cmp_ge_i32 s30, s16
	s_wait_storecnt_dscnt 0x0
	s_barrier_signal -1
	s_barrier_wait -1
	s_cbranch_scc1 .LBB5_267
; %bb.260:
	s_lshl_b32 s0, s17, 8
	s_branch .LBB5_263
.LBB5_261:                              ;   in Loop: Header=BB5_263 Depth=1
	s_or_b32 exec_lo, exec_lo, s4
	s_wait_storecnt 0x0
	s_barrier_signal -1
	s_barrier_wait -1
.LBB5_262:                              ;   in Loop: Header=BB5_263 Depth=1
	s_cmp_lt_i32 s1, s16
	s_mov_b32 s30, s1
	s_cbranch_scc0 .LBB5_267
.LBB5_263:                              ; =>This Loop Header: Depth=1
                                        ;     Child Loop BB5_266 Depth 2
	v_mov_b32_e32 v2, s30
	global_load_b32 v2, v2, s[8:9] scale_offset
	s_wait_loadcnt 0x0
	v_readfirstlane_b32 s1, v2
	s_not_b32 s2, s1
	s_add_co_i32 s3, s1, -1
	s_cmp_lt_i32 s1, 0
	s_cselect_b32 s2, s2, s3
	s_lshr_b32 s5, s1, 31
	s_delay_alu instid0(SALU_CYCLE_1) | instskip(NEXT) | instid1(SALU_CYCLE_1)
	s_add_co_i32 s1, s30, s5
	s_add_co_i32 s1, s1, 1
	s_cmp_eq_u32 s2, s30
	s_cselect_b32 s3, -1, 0
	s_cmp_le_i32 s18, s1
	s_cselect_b32 s4, -1, 0
	s_delay_alu instid0(SALU_CYCLE_1) | instskip(NEXT) | instid1(SALU_CYCLE_1)
	s_or_b32 s3, s3, s4
	s_and_b32 vcc_lo, exec_lo, s3
	s_cbranch_vccnz .LBB5_262
; %bb.264:                              ;   in Loop: Header=BB5_263 Depth=1
	s_sub_co_i32 s3, s18, s1
	s_mov_b32 s4, exec_lo
	v_cmpx_gt_i32_e64 s3, v0
	s_cbranch_execz .LBB5_261
; %bb.265:                              ;   in Loop: Header=BB5_263 Depth=1
	v_add3_u32 v2, s5, s30, v1
	v_mov_b32_e32 v3, v0
	s_mov_b32 s5, 0
	s_delay_alu instid0(VALU_DEP_2)
	v_mul_lo_u32 v2, s17, v2
.LBB5_266:                              ;   Parent Loop BB5_263 Depth=1
                                        ; =>  This Inner Loop Header: Depth=2
	s_delay_alu instid0(VALU_DEP_1) | instskip(NEXT) | instid1(VALU_DEP_3)
	v_dual_add_nc_u32 v8, s30, v2 :: v_dual_add_nc_u32 v9, s2, v2
	v_add_nc_u32_e32 v3, 0x100, v3
	v_add_nc_u32_e32 v2, s0, v2
	s_clause 0x1
	global_load_b64 v[4:5], v8, s[20:21] scale_offset
	global_load_b64 v[6:7], v9, s[20:21] scale_offset
	s_wait_loadcnt 0x1
	global_store_b64 v9, v[4:5], s[20:21] scale_offset
	s_wait_loadcnt 0x0
	global_store_b64 v8, v[6:7], s[20:21] scale_offset
	v_cmp_le_i32_e32 vcc_lo, s3, v3
	s_or_b32 s5, vcc_lo, s5
	s_wait_xcnt 0x0
	s_and_not1_b32 exec_lo, exec_lo, s5
	s_cbranch_execnz .LBB5_266
	s_branch .LBB5_261
.LBB5_267:
	s_endpgm
	.section	.rodata,"a",@progbits
	.p2align	6, 0x0
	.amdhsa_kernel _ZN9rocsolver6v33100L18lasyf_kernel_upperI19rocblas_complex_numIfEPS3_EEviiPiT0_iilS5_lS5_PT_
		.amdhsa_group_segment_fixed_size 2068
		.amdhsa_private_segment_fixed_size 0
		.amdhsa_kernarg_size 72
		.amdhsa_user_sgpr_count 2
		.amdhsa_user_sgpr_dispatch_ptr 0
		.amdhsa_user_sgpr_queue_ptr 0
		.amdhsa_user_sgpr_kernarg_segment_ptr 1
		.amdhsa_user_sgpr_dispatch_id 0
		.amdhsa_user_sgpr_kernarg_preload_length 0
		.amdhsa_user_sgpr_kernarg_preload_offset 0
		.amdhsa_user_sgpr_private_segment_size 0
		.amdhsa_wavefront_size32 1
		.amdhsa_uses_dynamic_stack 0
		.amdhsa_enable_private_segment 0
		.amdhsa_system_sgpr_workgroup_id_x 1
		.amdhsa_system_sgpr_workgroup_id_y 1
		.amdhsa_system_sgpr_workgroup_id_z 0
		.amdhsa_system_sgpr_workgroup_info 0
		.amdhsa_system_vgpr_workitem_id 0
		.amdhsa_next_free_vgpr 44
		.amdhsa_next_free_sgpr 68
		.amdhsa_named_barrier_count 0
		.amdhsa_reserve_vcc 1
		.amdhsa_float_round_mode_32 0
		.amdhsa_float_round_mode_16_64 0
		.amdhsa_float_denorm_mode_32 3
		.amdhsa_float_denorm_mode_16_64 3
		.amdhsa_fp16_overflow 0
		.amdhsa_memory_ordered 1
		.amdhsa_forward_progress 1
		.amdhsa_inst_pref_size 97
		.amdhsa_round_robin_scheduling 0
		.amdhsa_exception_fp_ieee_invalid_op 0
		.amdhsa_exception_fp_denorm_src 0
		.amdhsa_exception_fp_ieee_div_zero 0
		.amdhsa_exception_fp_ieee_overflow 0
		.amdhsa_exception_fp_ieee_underflow 0
		.amdhsa_exception_fp_ieee_inexact 0
		.amdhsa_exception_int_div_zero 0
	.end_amdhsa_kernel
	.section	.text._ZN9rocsolver6v33100L18lasyf_kernel_upperI19rocblas_complex_numIfEPS3_EEviiPiT0_iilS5_lS5_PT_,"axG",@progbits,_ZN9rocsolver6v33100L18lasyf_kernel_upperI19rocblas_complex_numIfEPS3_EEviiPiT0_iilS5_lS5_PT_,comdat
.Lfunc_end5:
	.size	_ZN9rocsolver6v33100L18lasyf_kernel_upperI19rocblas_complex_numIfEPS3_EEviiPiT0_iilS5_lS5_PT_, .Lfunc_end5-_ZN9rocsolver6v33100L18lasyf_kernel_upperI19rocblas_complex_numIfEPS3_EEviiPiT0_iilS5_lS5_PT_
                                        ; -- End function
	.set _ZN9rocsolver6v33100L18lasyf_kernel_upperI19rocblas_complex_numIfEPS3_EEviiPiT0_iilS5_lS5_PT_.num_vgpr, 44
	.set _ZN9rocsolver6v33100L18lasyf_kernel_upperI19rocblas_complex_numIfEPS3_EEviiPiT0_iilS5_lS5_PT_.num_agpr, 0
	.set _ZN9rocsolver6v33100L18lasyf_kernel_upperI19rocblas_complex_numIfEPS3_EEviiPiT0_iilS5_lS5_PT_.numbered_sgpr, 68
	.set _ZN9rocsolver6v33100L18lasyf_kernel_upperI19rocblas_complex_numIfEPS3_EEviiPiT0_iilS5_lS5_PT_.num_named_barrier, 0
	.set _ZN9rocsolver6v33100L18lasyf_kernel_upperI19rocblas_complex_numIfEPS3_EEviiPiT0_iilS5_lS5_PT_.private_seg_size, 0
	.set _ZN9rocsolver6v33100L18lasyf_kernel_upperI19rocblas_complex_numIfEPS3_EEviiPiT0_iilS5_lS5_PT_.uses_vcc, 1
	.set _ZN9rocsolver6v33100L18lasyf_kernel_upperI19rocblas_complex_numIfEPS3_EEviiPiT0_iilS5_lS5_PT_.uses_flat_scratch, 0
	.set _ZN9rocsolver6v33100L18lasyf_kernel_upperI19rocblas_complex_numIfEPS3_EEviiPiT0_iilS5_lS5_PT_.has_dyn_sized_stack, 0
	.set _ZN9rocsolver6v33100L18lasyf_kernel_upperI19rocblas_complex_numIfEPS3_EEviiPiT0_iilS5_lS5_PT_.has_recursion, 0
	.set _ZN9rocsolver6v33100L18lasyf_kernel_upperI19rocblas_complex_numIfEPS3_EEviiPiT0_iilS5_lS5_PT_.has_indirect_call, 0
	.section	.AMDGPU.csdata,"",@progbits
; Kernel info:
; codeLenInByte = 12296
; TotalNumSgprs: 70
; NumVgprs: 44
; ScratchSize: 0
; MemoryBound: 0
; FloatMode: 240
; IeeeMode: 1
; LDSByteSize: 2068 bytes/workgroup (compile time only)
; SGPRBlocks: 0
; VGPRBlocks: 2
; NumSGPRsForWavesPerEU: 70
; NumVGPRsForWavesPerEU: 44
; NamedBarCnt: 0
; Occupancy: 16
; WaveLimiterHint : 1
; COMPUTE_PGM_RSRC2:SCRATCH_EN: 0
; COMPUTE_PGM_RSRC2:USER_SGPR: 2
; COMPUTE_PGM_RSRC2:TRAP_HANDLER: 0
; COMPUTE_PGM_RSRC2:TGID_X_EN: 1
; COMPUTE_PGM_RSRC2:TGID_Y_EN: 1
; COMPUTE_PGM_RSRC2:TGID_Z_EN: 0
; COMPUTE_PGM_RSRC2:TIDIG_COMP_CNT: 0
	.section	.text._ZN9rocsolver6v33100L18lasyf_kernel_lowerI19rocblas_complex_numIfEPS3_EEviiPiT0_iilS5_lS5_PT_,"axG",@progbits,_ZN9rocsolver6v33100L18lasyf_kernel_lowerI19rocblas_complex_numIfEPS3_EEviiPiT0_iilS5_lS5_PT_,comdat
	.globl	_ZN9rocsolver6v33100L18lasyf_kernel_lowerI19rocblas_complex_numIfEPS3_EEviiPiT0_iilS5_lS5_PT_ ; -- Begin function _ZN9rocsolver6v33100L18lasyf_kernel_lowerI19rocblas_complex_numIfEPS3_EEviiPiT0_iilS5_lS5_PT_
	.p2align	8
	.type	_ZN9rocsolver6v33100L18lasyf_kernel_lowerI19rocblas_complex_numIfEPS3_EEviiPiT0_iilS5_lS5_PT_,@function
_ZN9rocsolver6v33100L18lasyf_kernel_lowerI19rocblas_complex_numIfEPS3_EEviiPiT0_iilS5_lS5_PT_: ; @_ZN9rocsolver6v33100L18lasyf_kernel_lowerI19rocblas_complex_numIfEPS3_EEviiPiT0_iilS5_lS5_PT_
; %bb.0:
	v_cmp_eq_u32_e64 s2, 0, v0
	s_and_saveexec_b32 s3, s2
; %bb.1:
	v_mov_b32_e32 v1, 0
	ds_store_b32 v1, v1 offset:2052
; %bb.2:
	s_or_b32 exec_lo, exec_lo, s3
	s_clause 0x4
	s_load_b64 s[18:19], s[0:1], 0x18
	s_load_b64 s[20:21], s[0:1], 0x0
	s_load_b256 s[4:11], s[0:1], 0x20
	s_load_b128 s[12:15], s[0:1], 0x8
	s_load_b64 s[24:25], s[0:1], 0x40
	s_wait_xcnt 0x0
	s_bfe_u32 s0, ttmp6, 0x40010
	s_bfe_u32 s1, ttmp6, 0x40004
	s_add_co_i32 s0, s0, 1
	s_getreg_b32 s3, hwreg(HW_REG_IB_STS2, 6, 4)
	s_mul_i32 s0, ttmp7, s0
	v_lshlrev_b32_e32 v4, 3, v0
	s_add_co_i32 s16, s1, s0
	s_wait_kmcnt 0x0
	s_ashr_i32 s1, s18, 31
	s_cmp_eq_u32 s3, 0
	v_mul_lo_u32 v1, v0, s19
	s_cselect_b32 s34, ttmp7, s16
	s_mov_b32 s0, s18
	s_ashr_i32 s35, s34, 31
	s_mul_i32 s3, s20, s34
	s_lshl_b64 s[26:27], s[0:1], 3
	s_mul_u64 s[0:1], s[4:5], s[34:35]
	s_mul_i32 s4, s3, s21
	s_mul_u64 s[8:9], s[8:9], s[34:35]
	s_lshl_b64 s[28:29], s[0:1], 3
	s_ashr_i32 s5, s4, 31
	s_lshl_b64 s[0:1], s[8:9], 2
	s_add_nc_u64 s[8:9], s[14:15], s[28:29]
	s_lshl_b64 s[30:31], s[4:5], 3
	s_cmp_lt_i32 s20, 1
	s_add_nc_u64 s[8:9], s[8:9], s[26:27]
	s_add_nc_u64 s[22:23], s[24:25], s[30:31]
	;; [unrolled: 1-line block ×3, first 2 shown]
	s_cbranch_scc1 .LBB6_264
; %bb.3:
	v_mul_lo_u32 v8, v0, s20
	v_dual_mov_b32 v7, 0 :: v_dual_lshlrev_b32 v38, 2, v0
	v_add_nc_u32_e32 v40, 2, v0
	s_add_nc_u64 s[36:37], s[24:25], s[30:31]
	s_add_nc_u64 s[4:5], s[28:29], s[26:27]
	s_add_co_i32 s18, s21, -1
	s_add_nc_u64 s[40:41], s[14:15], s[4:5]
	s_cmp_eq_u32 s21, s20
	s_mov_b32 s4, s19
	s_cselect_b32 s33, -1, 0
	s_delay_alu instid0(VALU_DEP_3)
	v_dual_ashrrev_i32 v9, 31, v8 :: v_dual_mov_b32 v5, v7
	v_add_nc_u32_e32 v41, s19, v40
	s_ashr_i32 s5, s19, 31
	v_cmp_gt_u32_e64 s0, 0x80, v0
	s_lshl_b64 s[46:47], s[4:5], 3
	v_add_nc_u64_e32 v[10:11], s[36:37], v[4:5]
	v_add_nc_u64_e32 v[12:13], s[40:41], v[4:5]
	v_mul_lo_u32 v5, v0, s19
	s_lshl_b32 s4, s20, 8
	v_or_b32_e32 v39, 0x400, v38
	v_cmp_gt_u32_e64 s1, 64, v0
	v_cmp_gt_u32_e64 s3, 32, v0
	v_add_nc_u64_e32 v[14:15], 8, v[10:11]
	v_dual_mov_b32 v16, -1.0 :: v_dual_mov_b32 v2, v7
	s_mov_b32 s39, 0
	s_mov_b32 s38, s20
	s_ashr_i32 s5, s4, 31
	s_add_co_i32 s52, s20, -1
	s_add_co_i32 s53, s19, 1
	s_add_co_i32 s54, s20, -2
	s_add_co_i32 s55, s20, 1
	s_add_nc_u64 s[42:43], s[36:37], 4
	s_lshl_b64 s[44:45], s[38:39], 3
	s_lshl_b32 s38, s19, 8
	s_lshl_b64 s[48:49], s[4:5], 3
	s_mov_b64 s[50:51], 0xbf800000
                                        ; implicit-def: $sgpr56
	s_branch .LBB6_6
.LBB6_4:                                ;   in Loop: Header=BB6_6 Depth=1
	s_wait_xcnt 0x0
	s_or_b32 exec_lo, exec_lo, s4
	v_add_nc_u32_e32 v2, v6, v2
	s_and_not1_b32 s4, s56, exec_lo
	s_delay_alu instid0(VALU_DEP_1) | instskip(SKIP_1) | instid1(SALU_CYCLE_1)
	v_cmp_le_i32_e32 vcc_lo, s20, v2
	s_and_b32 s5, vcc_lo, exec_lo
	s_or_b32 s56, s4, s5
.LBB6_5:                                ;   in Loop: Header=BB6_6 Depth=1
	s_or_b32 exec_lo, exec_lo, s57
	s_delay_alu instid0(SALU_CYCLE_1) | instskip(NEXT) | instid1(SALU_CYCLE_1)
	s_and_b32 s4, exec_lo, s56
	s_or_b32 s39, s4, s39
	s_delay_alu instid0(SALU_CYCLE_1)
	s_and_not1_b32 exec_lo, exec_lo, s39
	s_cbranch_execz .LBB6_232
.LBB6_6:                                ; =>This Loop Header: Depth=1
                                        ;     Child Loop BB6_11 Depth 2
                                        ;     Child Loop BB6_16 Depth 2
                                        ;       Child Loop BB6_18 Depth 3
                                        ;     Child Loop BB6_22 Depth 2
                                        ;     Child Loop BB6_66 Depth 2
	;; [unrolled: 1-line block ×4, first 2 shown]
                                        ;       Child Loop BB6_78 Depth 3
                                        ;     Child Loop BB6_83 Depth 2
                                        ;     Child Loop BB6_126 Depth 2
	;; [unrolled: 1-line block ×9, first 2 shown]
	v_cmp_gt_i32_e32 vcc_lo, s18, v2
	s_or_b32 s56, s56, exec_lo
	s_or_b32 s4, s33, vcc_lo
	s_delay_alu instid0(SALU_CYCLE_1)
	s_and_saveexec_b32 s57, s4
	s_cbranch_execz .LBB6_5
; %bb.7:                                ;   in Loop: Header=BB6_6 Depth=1
	v_mul_lo_u32 v20, v2, s20
	v_sub_nc_u32_e32 v43, s20, v2
	s_mov_b32 s4, exec_lo
	s_delay_alu instid0(VALU_DEP_1)
	v_cmp_lt_i32_e64 s5, v0, v43
	v_cmpx_ge_i32_e64 v0, v43
	s_xor_b32 s4, exec_lo, s4
; %bb.8:                                ;   in Loop: Header=BB6_6 Depth=1
	v_mul_lo_u32 v20, v2, s20
; %bb.9:                                ;   in Loop: Header=BB6_6 Depth=1
	s_and_not1_saveexec_b32 s4, s4
	s_cbranch_execz .LBB6_13
; %bb.10:                               ;   in Loop: Header=BB6_6 Depth=1
	v_mad_u32 v22, s53, v2, v0
	v_mad_u32 v6, s55, v2, v0
	s_mov_b32 s6, 0
	s_delay_alu instid0(VALU_DEP_2) | instskip(NEXT) | instid1(VALU_DEP_2)
	v_dual_mov_b32 v3, v0 :: v_dual_ashrrev_i32 v23, 31, v22
	v_lshl_add_u64 v[18:19], v[6:7], 3, s[36:37]
	s_delay_alu instid0(VALU_DEP_2)
	v_lshl_add_u64 v[22:23], v[22:23], 3, s[40:41]
.LBB6_11:                               ;   Parent Loop BB6_6 Depth=1
                                        ; =>  This Inner Loop Header: Depth=2
	global_load_b64 v[24:25], v[22:23], off
	v_add_nc_u32_e32 v3, 0x100, v3
	s_wait_xcnt 0x0
	v_add_nc_u64_e32 v[22:23], 0x800, v[22:23]
	s_delay_alu instid0(VALU_DEP_2)
	v_cmp_ge_i32_e32 vcc_lo, v3, v43
	s_or_b32 s6, vcc_lo, s6
	s_wait_loadcnt 0x0
	global_store_b64 v[18:19], v[24:25], off
	s_wait_xcnt 0x0
	v_add_nc_u64_e32 v[18:19], 0x800, v[18:19]
	s_and_not1_b32 exec_lo, exec_lo, s6
	s_cbranch_execnz .LBB6_11
; %bb.12:                               ;   in Loop: Header=BB6_6 Depth=1
	s_or_b32 exec_lo, exec_lo, s6
.LBB6_13:                               ;   in Loop: Header=BB6_6 Depth=1
	s_delay_alu instid0(SALU_CYCLE_1) | instskip(NEXT) | instid1(VALU_DEP_1)
	s_or_b32 exec_lo, exec_lo, s4
	v_dual_mov_b32 v3, v7 :: v_dual_ashrrev_i32 v21, 31, v20
	s_wait_storecnt_dscnt 0x0
	s_barrier_signal -1
	s_barrier_wait -1
	s_delay_alu instid0(VALU_DEP_1) | instskip(NEXT) | instid1(VALU_DEP_1)
	v_lshl_add_u64 v[22:23], v[2:3], 3, s[22:23]
	v_lshl_add_u64 v[18:19], v[20:21], 3, v[22:23]
	s_and_saveexec_b32 s6, s5
	s_cbranch_execz .LBB6_20
; %bb.14:                               ;   in Loop: Header=BB6_6 Depth=1
	v_lshlrev_b64_e32 v[26:27], 3, v[2:3]
	v_mov_b32_e32 v6, v0
	s_mov_b32 s7, 0
	v_cmp_ne_u32_e32 vcc_lo, 0, v2
	s_delay_alu instid0(VALU_DEP_3)
	v_add_nc_u64_e32 v[24:25], s[42:43], v[26:27]
	v_add_nc_u64_e32 v[26:27], v[12:13], v[26:27]
	s_branch .LBB6_16
.LBB6_15:                               ;   in Loop: Header=BB6_16 Depth=2
	s_or_b32 exec_lo, exec_lo, s58
	v_lshl_add_u64 v[30:31], v[6:7], 3, v[18:19]
	v_dual_mul_f32 v35, 0, v17 :: v_dual_mov_b32 v36, v29
	v_xor_b32_e32 v44, 0x80000000, v17
	v_add_nc_u64_e32 v[26:27], 0x800, v[26:27]
	global_load_b64 v[32:33], v[30:31], off
	s_wait_loadcnt 0x0
	v_dual_mov_b32 v37, v32 :: v_dual_mul_f32 v28, 0, v33
	v_dual_mov_b32 v34, v32 :: v_dual_mov_b32 v45, v33
	s_delay_alu instid0(VALU_DEP_2) | instskip(SKIP_1) | instid1(VALU_DEP_3)
	v_pk_fma_f32 v[32:33], v[36:37], 0, v[32:33] op_sel_hi:[1,0,1]
	v_add_nc_u32_e32 v6, 0x100, v6
	v_pk_add_f32 v[28:29], v[34:35], v[28:29] neg_lo:[0,1] neg_hi:[0,1]
	s_delay_alu instid0(VALU_DEP_4) | instskip(NEXT) | instid1(VALU_DEP_4)
	v_pk_fma_f32 v[34:35], v[36:37], 0, v[44:45] op_sel_hi:[1,0,1] neg_lo:[1,0,0] neg_hi:[1,0,0]
	v_mov_b32_e32 v35, v33
	s_delay_alu instid0(VALU_DEP_4) | instskip(NEXT) | instid1(VALU_DEP_2)
	v_cmp_ge_i32_e64 s4, v6, v43
	v_pk_add_f32 v[28:29], v[34:35], v[28:29]
	s_or_b32 s7, s4, s7
	global_store_b64 v[30:31], v[28:29], off
	s_wait_xcnt 0x0
	s_and_not1_b32 exec_lo, exec_lo, s7
	s_cbranch_execz .LBB6_20
.LBB6_16:                               ;   Parent Loop BB6_6 Depth=1
                                        ; =>  This Loop Header: Depth=2
                                        ;       Child Loop BB6_18 Depth 3
	v_dual_mov_b32 v29, 0 :: v_dual_mov_b32 v17, 0
	s_and_saveexec_b32 s58, vcc_lo
	s_cbranch_execz .LBB6_15
; %bb.17:                               ;   in Loop: Header=BB6_16 Depth=2
	s_delay_alu instid0(VALU_DEP_2)
	v_mov_b64_e32 v[30:31], v[26:27]
	v_mov_b64_e32 v[32:33], v[24:25]
	v_dual_mov_b32 v29, 0 :: v_dual_mov_b32 v28, v2
	v_mov_b32_e32 v17, 0
	s_mov_b32 s59, 0
.LBB6_18:                               ;   Parent Loop BB6_6 Depth=1
                                        ;     Parent Loop BB6_16 Depth=2
                                        ; =>    This Inner Loop Header: Depth=3
	global_load_b64 v[34:35], v[30:31], off
	global_load_b64 v[36:37], v[32:33], off offset:-4
	s_wait_xcnt 0x0
	v_add_nc_u64_e32 v[32:33], s[44:45], v[32:33]
	v_add_nc_u64_e32 v[30:31], s[46:47], v[30:31]
	s_wait_loadcnt 0x0
	v_dual_mul_f32 v42, v37, v35 :: v_dual_mul_f32 v35, v36, v35
	s_delay_alu instid0(VALU_DEP_1) | instskip(NEXT) | instid1(VALU_DEP_2)
	v_dual_add_nc_u32 v28, -1, v28 :: v_dual_fma_f32 v36, v36, v34, -v42
	v_fmac_f32_e32 v35, v37, v34
	s_delay_alu instid0(VALU_DEP_2) | instskip(NEXT) | instid1(VALU_DEP_3)
	v_cmp_eq_u32_e64 s4, 0, v28
	v_add_f32_e32 v17, v17, v36
	s_delay_alu instid0(VALU_DEP_3) | instskip(SKIP_1) | instid1(SALU_CYCLE_1)
	v_add_f32_e32 v29, v29, v35
	s_or_b32 s59, s4, s59
	s_and_not1_b32 exec_lo, exec_lo, s59
	s_cbranch_execnz .LBB6_18
; %bb.19:                               ;   in Loop: Header=BB6_16 Depth=2
	s_or_b32 exec_lo, exec_lo, s59
	s_branch .LBB6_15
.LBB6_20:                               ;   in Loop: Header=BB6_6 Depth=1
	s_or_b32 exec_lo, exec_lo, s6
	v_dual_mov_b32 v26, 0 :: v_dual_add_nc_u32 v17, -1, v43
	v_bfrev_b32_e32 v6, -2
	s_wait_storecnt 0x0
	s_barrier_signal -1
	s_delay_alu instid0(VALU_DEP_2)
	v_cmp_lt_i32_e64 s4, v0, v17
	s_barrier_wait -1
	s_and_saveexec_b32 s58, s4
	s_cbranch_execz .LBB6_24
; %bb.21:                               ;   in Loop: Header=BB6_6 Depth=1
	v_lshlrev_b64_e32 v[24:25], 3, v[2:3]
	v_bfrev_b32_e32 v6, -2
	v_dual_mov_b32 v26, 0 :: v_dual_mov_b32 v27, v0
	s_mov_b32 s59, 0
	s_delay_alu instid0(VALU_DEP_3) | instskip(NEXT) | instid1(VALU_DEP_1)
	v_lshl_add_u64 v[24:25], v[20:21], 3, v[24:25]
	v_add_nc_u64_e32 v[24:25], v[14:15], v[24:25]
.LBB6_22:                               ;   Parent Loop BB6_6 Depth=1
                                        ; =>  This Inner Loop Header: Depth=2
	global_load_b64 v[28:29], v[24:25], off
	s_wait_xcnt 0x0
	v_add_nc_u64_e32 v[24:25], 0x800, v[24:25]
	s_wait_loadcnt 0x0
	v_cmp_gt_f32_e32 vcc_lo, 0, v29
	v_cndmask_b32_e64 v29, v29, -v29, vcc_lo
	v_cmp_gt_f32_e32 vcc_lo, 0, v28
	v_cndmask_b32_e64 v28, v28, -v28, vcc_lo
	v_cmp_eq_u32_e32 vcc_lo, 0x7fffffff, v6
	s_delay_alu instid0(VALU_DEP_2) | instskip(NEXT) | instid1(VALU_DEP_1)
	v_dual_add_f32 v28, v28, v29 :: v_dual_add_nc_u32 v29, 1, v27
	v_cmp_lt_f32_e64 s6, v26, v28
	s_or_b32 vcc_lo, s6, vcc_lo
	v_dual_cndmask_b32 v6, v6, v29 :: v_dual_add_nc_u32 v27, 0x100, v27
	v_cndmask_b32_e32 v26, v26, v28, vcc_lo
	s_delay_alu instid0(VALU_DEP_2) | instskip(SKIP_1) | instid1(SALU_CYCLE_1)
	v_cmp_ge_i32_e64 s7, v27, v17
	s_or_b32 s59, s7, s59
	s_and_not1_b32 exec_lo, exec_lo, s59
	s_cbranch_execnz .LBB6_22
; %bb.23:                               ;   in Loop: Header=BB6_6 Depth=1
	s_or_b32 exec_lo, exec_lo, s59
.LBB6_24:                               ;   in Loop: Header=BB6_6 Depth=1
	s_delay_alu instid0(SALU_CYCLE_1) | instskip(NEXT) | instid1(SALU_CYCLE_1)
	s_or_b32 exec_lo, exec_lo, s58
	s_mov_b32 s58, exec_lo
	ds_store_b32 v39, v26
	ds_store_b32 v38, v6
	s_wait_dscnt 0x0
	s_barrier_signal -1
	s_barrier_wait -1
	v_cmpx_lt_i32_e32 2, v43
	s_cbranch_execz .LBB6_60
; %bb.25:                               ;   in Loop: Header=BB6_6 Depth=1
	s_and_saveexec_b32 s7, s0
	s_cbranch_execz .LBB6_31
; %bb.26:                               ;   in Loop: Header=BB6_6 Depth=1
	ds_load_b32 v24, v39 offset:512
	ds_load_b32 v25, v38 offset:512
	s_mov_b32 s60, exec_lo
	s_wait_dscnt 0x1
	v_cmp_lt_f32_e64 s59, v26, v24
	v_cmpx_nlt_f32_e32 v26, v24
	s_cbranch_execz .LBB6_28
; %bb.27:                               ;   in Loop: Header=BB6_6 Depth=1
	v_cmp_eq_f32_e32 vcc_lo, v26, v24
	s_wait_dscnt 0x0
	v_cmp_gt_i32_e64 s6, v6, v25
	s_and_not1_b32 s59, s59, exec_lo
	s_and_b32 s6, vcc_lo, s6
	s_delay_alu instid0(SALU_CYCLE_1) | instskip(NEXT) | instid1(SALU_CYCLE_1)
	s_and_b32 s6, s6, exec_lo
	s_or_b32 s59, s59, s6
.LBB6_28:                               ;   in Loop: Header=BB6_6 Depth=1
	s_or_b32 exec_lo, exec_lo, s60
	s_and_saveexec_b32 s6, s59
	s_cbranch_execz .LBB6_30
; %bb.29:                               ;   in Loop: Header=BB6_6 Depth=1
	s_wait_dscnt 0x0
	v_dual_mov_b32 v26, v24 :: v_dual_mov_b32 v6, v25
	ds_store_b32 v39, v24
	ds_store_b32 v38, v25
.LBB6_30:                               ;   in Loop: Header=BB6_6 Depth=1
	s_or_b32 exec_lo, exec_lo, s6
.LBB6_31:                               ;   in Loop: Header=BB6_6 Depth=1
	s_delay_alu instid0(SALU_CYCLE_1)
	s_or_b32 exec_lo, exec_lo, s7
	s_wait_dscnt 0x0
	s_barrier_signal -1
	s_barrier_wait -1
	s_and_saveexec_b32 s7, s1
	s_cbranch_execz .LBB6_37
; %bb.32:                               ;   in Loop: Header=BB6_6 Depth=1
	ds_load_b32 v24, v39 offset:256
	ds_load_b32 v25, v38 offset:256
	s_mov_b32 s60, exec_lo
	s_wait_dscnt 0x1
	v_cmp_lt_f32_e64 s59, v26, v24
	v_cmpx_nlt_f32_e32 v26, v24
	s_cbranch_execz .LBB6_34
; %bb.33:                               ;   in Loop: Header=BB6_6 Depth=1
	v_cmp_eq_f32_e32 vcc_lo, v26, v24
	s_wait_dscnt 0x0
	v_cmp_gt_i32_e64 s6, v6, v25
	s_and_not1_b32 s59, s59, exec_lo
	s_and_b32 s6, vcc_lo, s6
	s_delay_alu instid0(SALU_CYCLE_1) | instskip(NEXT) | instid1(SALU_CYCLE_1)
	s_and_b32 s6, s6, exec_lo
	s_or_b32 s59, s59, s6
.LBB6_34:                               ;   in Loop: Header=BB6_6 Depth=1
	s_or_b32 exec_lo, exec_lo, s60
	s_and_saveexec_b32 s6, s59
	s_cbranch_execz .LBB6_36
; %bb.35:                               ;   in Loop: Header=BB6_6 Depth=1
	s_wait_dscnt 0x0
	v_dual_mov_b32 v26, v24 :: v_dual_mov_b32 v6, v25
	ds_store_b32 v39, v24
	ds_store_b32 v38, v25
.LBB6_36:                               ;   in Loop: Header=BB6_6 Depth=1
	s_or_b32 exec_lo, exec_lo, s6
.LBB6_37:                               ;   in Loop: Header=BB6_6 Depth=1
	s_delay_alu instid0(SALU_CYCLE_1)
	s_or_b32 exec_lo, exec_lo, s7
	s_wait_dscnt 0x0
	s_barrier_signal -1
	s_barrier_wait -1
	s_and_b32 exec_lo, exec_lo, s3
	s_cbranch_execz .LBB6_60
; %bb.38:                               ;   in Loop: Header=BB6_6 Depth=1
	ds_load_b32 v24, v39 offset:128
	ds_load_b32 v25, v38 offset:128
	s_mov_b32 s59, exec_lo
	s_wait_dscnt 0x1
	v_cmp_lt_f32_e64 s7, v26, v24
	v_cmpx_nlt_f32_e32 v26, v24
	s_cbranch_execz .LBB6_40
; %bb.39:                               ;   in Loop: Header=BB6_6 Depth=1
	v_cmp_eq_f32_e32 vcc_lo, v26, v24
	s_wait_dscnt 0x0
	v_cmp_gt_i32_e64 s6, v6, v25
	s_and_not1_b32 s7, s7, exec_lo
	s_and_b32 s6, vcc_lo, s6
	s_delay_alu instid0(SALU_CYCLE_1) | instskip(NEXT) | instid1(SALU_CYCLE_1)
	s_and_b32 s6, s6, exec_lo
	s_or_b32 s7, s7, s6
.LBB6_40:                               ;   in Loop: Header=BB6_6 Depth=1
	s_or_b32 exec_lo, exec_lo, s59
	s_and_saveexec_b32 s6, s7
	s_cbranch_execz .LBB6_42
; %bb.41:                               ;   in Loop: Header=BB6_6 Depth=1
	s_wait_dscnt 0x0
	v_dual_mov_b32 v6, v25 :: v_dual_mov_b32 v26, v24
	ds_store_b32 v39, v24
	ds_store_b32 v38, v25
.LBB6_42:                               ;   in Loop: Header=BB6_6 Depth=1
	s_or_b32 exec_lo, exec_lo, s6
	ds_load_b32 v24, v39 offset:64
	s_wait_dscnt 0x1
	ds_load_b32 v25, v38 offset:64
	s_mov_b32 s59, exec_lo
	s_wait_dscnt 0x1
	v_cmp_lt_f32_e64 s7, v26, v24
	v_cmpx_nlt_f32_e32 v26, v24
	s_cbranch_execz .LBB6_44
; %bb.43:                               ;   in Loop: Header=BB6_6 Depth=1
	v_cmp_eq_f32_e32 vcc_lo, v26, v24
	s_wait_dscnt 0x0
	v_cmp_gt_i32_e64 s6, v6, v25
	s_and_not1_b32 s7, s7, exec_lo
	s_and_b32 s6, vcc_lo, s6
	s_delay_alu instid0(SALU_CYCLE_1) | instskip(NEXT) | instid1(SALU_CYCLE_1)
	s_and_b32 s6, s6, exec_lo
	s_or_b32 s7, s7, s6
.LBB6_44:                               ;   in Loop: Header=BB6_6 Depth=1
	s_or_b32 exec_lo, exec_lo, s59
	s_and_saveexec_b32 s6, s7
	s_cbranch_execz .LBB6_46
; %bb.45:                               ;   in Loop: Header=BB6_6 Depth=1
	s_wait_dscnt 0x0
	v_dual_mov_b32 v6, v25 :: v_dual_mov_b32 v26, v24
	ds_store_b32 v39, v24
	ds_store_b32 v38, v25
.LBB6_46:                               ;   in Loop: Header=BB6_6 Depth=1
	s_or_b32 exec_lo, exec_lo, s6
	ds_load_b32 v24, v39 offset:32
	s_wait_dscnt 0x1
	;; [unrolled: 28-line block ×5, first 2 shown]
	ds_load_b32 v25, v38 offset:4
	s_wait_dscnt 0x1
	v_cmp_eq_f32_e32 vcc_lo, v26, v24
	s_wait_dscnt 0x0
	v_cmp_gt_i32_e64 s6, v6, v25
	v_cmp_lt_f32_e64 s7, v26, v24
	s_and_b32 s6, vcc_lo, s6
	s_delay_alu instid0(SALU_CYCLE_1) | instskip(NEXT) | instid1(SALU_CYCLE_1)
	s_or_b32 s6, s7, s6
	s_and_b32 exec_lo, exec_lo, s6
	s_cbranch_execz .LBB6_60
; %bb.59:                               ;   in Loop: Header=BB6_6 Depth=1
	ds_store_b32 v39, v24
	ds_store_b32 v38, v25
.LBB6_60:                               ;   in Loop: Header=BB6_6 Depth=1
	s_or_b32 exec_lo, exec_lo, s58
	s_and_saveexec_b32 s6, s2
	s_cbranch_execz .LBB6_62
; %bb.61:                               ;   in Loop: Header=BB6_6 Depth=1
	global_load_b64 v[24:25], v[18:19], off
	ds_load_2addr_stride64_b32 v[26:27], v7 offset1:4
	s_wait_loadcnt 0x0
	v_cmp_gt_f32_e32 vcc_lo, 0, v25
	v_cndmask_b32_e64 v6, v25, -v25, vcc_lo
	v_cmp_gt_f32_e32 vcc_lo, 0, v24
	s_wait_dscnt 0x0
	v_dual_add_nc_u32 v25, v26, v2 :: v_dual_cndmask_b32 v24, v24, -v24, vcc_lo
	s_delay_alu instid0(VALU_DEP_1)
	v_add_f32_e32 v26, v24, v6
	ds_store_b32 v7, v25 offset:2048
	ds_store_b64 v7, v[26:27] offset:2056
.LBB6_62:                               ;   in Loop: Header=BB6_6 Depth=1
	s_or_b32 exec_lo, exec_lo, s6
	s_wait_dscnt 0x0
	s_barrier_signal -1
	s_barrier_wait -1
	ds_load_b64 v[24:25], v7 offset:2056
	v_add_nc_u32_e32 v42, 1, v2
	s_wait_dscnt 0x0
	v_readfirstlane_b32 s6, v24
	v_readfirstlane_b32 s7, v25
	s_cmp_lt_f32 s6, s7
	s_cselect_b32 s58, s7, s6
	s_delay_alu instid0(SALU_CYCLE_1)
	s_cmp_neq_f32 s58, 0
	s_cbranch_scc0 .LBB6_80
; %bb.63:                               ;   in Loop: Header=BB6_6 Depth=1
	s_mul_f32 s7, s7, 0x3f23f07b
	s_delay_alu instid0(SALU_CYCLE_3)
	s_cmp_ge_f32 s6, s7
	s_cbranch_scc1 .LBB6_175
; %bb.64:                               ;   in Loop: Header=BB6_6 Depth=1
	ds_load_b32 v26, v7 offset:2048
	s_mov_b32 s6, exec_lo
	s_wait_dscnt 0x0
	v_sub_nc_u32_e32 v27, v26, v2
	s_delay_alu instid0(VALU_DEP_1)
	v_cmpx_lt_i32_e64 v0, v27
	s_cbranch_execz .LBB6_67
; %bb.65:                               ;   in Loop: Header=BB6_6 Depth=1
	v_add_nc_u32_e32 v24, v0, v2
	s_mov_b32 s7, 0
	s_delay_alu instid0(VALU_DEP_1) | instskip(SKIP_1) | instid1(VALU_DEP_2)
	v_mad_u32 v6, v42, s20, v24
	v_mad_u32 v28, s19, v24, v26
	v_lshl_add_u64 v[24:25], v[6:7], 3, s[36:37]
	v_mov_b32_e32 v6, v0
.LBB6_66:                               ;   Parent Loop BB6_6 Depth=1
                                        ; =>  This Inner Loop Header: Depth=2
	global_load_b64 v[30:31], v28, s[8:9] scale_offset
	v_add_nc_u32_e32 v6, 0x100, v6
	s_wait_xcnt 0x0
	v_add_nc_u32_e32 v28, s38, v28
	s_delay_alu instid0(VALU_DEP_2)
	v_cmp_ge_i32_e32 vcc_lo, v6, v27
	s_or_b32 s7, vcc_lo, s7
	s_wait_loadcnt 0x0
	global_store_b64 v[24:25], v[30:31], off
	s_wait_xcnt 0x0
	v_add_nc_u64_e32 v[24:25], 0x800, v[24:25]
	s_and_not1_b32 exec_lo, exec_lo, s7
	s_cbranch_execnz .LBB6_66
.LBB6_67:                               ;   in Loop: Header=BB6_6 Depth=1
	s_or_b32 exec_lo, exec_lo, s6
	v_sub_nc_u32_e32 v6, s20, v26
	s_mov_b32 s6, exec_lo
                                        ; implicit-def: $vgpr24
	s_delay_alu instid0(VALU_DEP_1)
	v_cmpx_ge_i32_e64 v0, v6
	s_xor_b32 s6, exec_lo, s6
; %bb.68:                               ;   in Loop: Header=BB6_6 Depth=1
	v_mul_lo_u32 v24, v42, s20
                                        ; implicit-def: $vgpr6
                                        ; implicit-def: $vgpr26
; %bb.69:                               ;   in Loop: Header=BB6_6 Depth=1
	s_and_not1_saveexec_b32 s6, s6
	s_cbranch_execz .LBB6_73
; %bb.70:                               ;   in Loop: Header=BB6_6 Depth=1
	v_mul_lo_u32 v24, v42, s20
	v_mad_u32 v28, s53, v26, v0
	v_mov_b32_e32 v25, v0
	s_mov_b32 s7, 0
	s_delay_alu instid0(VALU_DEP_3) | instskip(NEXT) | instid1(VALU_DEP_1)
	v_add3_u32 v30, v0, v26, v24
	v_dual_ashrrev_i32 v29, 31, v28 :: v_dual_ashrrev_i32 v31, 31, v30
	s_delay_alu instid0(VALU_DEP_1) | instskip(NEXT) | instid1(VALU_DEP_2)
	v_lshl_add_u64 v[26:27], v[28:29], 3, s[40:41]
	v_lshl_add_u64 v[28:29], v[30:31], 3, s[36:37]
.LBB6_71:                               ;   Parent Loop BB6_6 Depth=1
                                        ; =>  This Inner Loop Header: Depth=2
	global_load_b64 v[30:31], v[26:27], off
	v_add_nc_u32_e32 v25, 0x100, v25
	s_wait_xcnt 0x0
	v_add_nc_u64_e32 v[26:27], 0x800, v[26:27]
	s_delay_alu instid0(VALU_DEP_2)
	v_cmp_ge_i32_e32 vcc_lo, v25, v6
	s_or_b32 s7, vcc_lo, s7
	s_wait_loadcnt 0x0
	global_store_b64 v[28:29], v[30:31], off
	s_wait_xcnt 0x0
	v_add_nc_u64_e32 v[28:29], 0x800, v[28:29]
	s_and_not1_b32 exec_lo, exec_lo, s7
	s_cbranch_execnz .LBB6_71
; %bb.72:                               ;   in Loop: Header=BB6_6 Depth=1
	s_or_b32 exec_lo, exec_lo, s7
.LBB6_73:                               ;   in Loop: Header=BB6_6 Depth=1
	s_delay_alu instid0(SALU_CYCLE_1) | instskip(NEXT) | instid1(VALU_DEP_1)
	s_or_b32 exec_lo, exec_lo, s6
	v_ashrrev_i32_e32 v25, 31, v24
	s_wait_storecnt 0x0
	s_barrier_signal -1
	s_barrier_wait -1
	s_and_saveexec_b32 s7, s5
	s_cbranch_execz .LBB6_81
; %bb.74:                               ;   in Loop: Header=BB6_6 Depth=1
	ds_load_b32 v26, v7 offset:2048
	v_lshl_add_u64 v[30:31], v[2:3], 3, v[12:13]
	s_mov_b32 s58, 0
	v_cmp_ne_u32_e32 vcc_lo, 0, v2
	s_wait_dscnt 0x0
	v_dual_mov_b32 v6, v0 :: v_dual_ashrrev_i32 v27, 31, v26
	s_delay_alu instid0(VALU_DEP_1) | instskip(SKIP_1) | instid1(VALU_DEP_2)
	v_lshlrev_b64_e32 v[28:29], 3, v[26:27]
	v_lshl_add_u64 v[26:27], v[24:25], 3, v[22:23]
	v_add_nc_u64_e32 v[28:29], s[42:43], v[28:29]
	s_branch .LBB6_76
.LBB6_75:                               ;   in Loop: Header=BB6_76 Depth=2
	s_or_b32 exec_lo, exec_lo, s59
	v_lshl_add_u64 v[34:35], v[6:7], 3, v[26:27]
	v_dual_mul_f32 v47, 0, v44 :: v_dual_mov_b32 v48, v33
	v_xor_b32_e32 v44, 0x80000000, v44
	v_add_nc_u64_e32 v[30:31], 0x800, v[30:31]
	global_load_b64 v[36:37], v[34:35], off
	s_wait_loadcnt 0x0
	v_dual_mov_b32 v49, v36 :: v_dual_mul_f32 v32, 0, v37
	v_dual_mov_b32 v46, v36 :: v_dual_mov_b32 v45, v37
	s_delay_alu instid0(VALU_DEP_2) | instskip(SKIP_1) | instid1(VALU_DEP_3)
	v_pk_fma_f32 v[36:37], v[48:49], 0, v[36:37] op_sel_hi:[1,0,1]
	v_add_nc_u32_e32 v6, 0x100, v6
	v_pk_add_f32 v[32:33], v[46:47], v[32:33] neg_lo:[0,1] neg_hi:[0,1]
	s_delay_alu instid0(VALU_DEP_4) | instskip(NEXT) | instid1(VALU_DEP_4)
	v_pk_fma_f32 v[44:45], v[48:49], 0, v[44:45] op_sel_hi:[1,0,1] neg_lo:[1,0,0] neg_hi:[1,0,0]
	v_mov_b32_e32 v45, v37
	s_delay_alu instid0(VALU_DEP_4) | instskip(NEXT) | instid1(VALU_DEP_2)
	v_cmp_ge_i32_e64 s6, v6, v43
	v_pk_add_f32 v[32:33], v[44:45], v[32:33]
	s_or_b32 s58, s6, s58
	global_store_b64 v[34:35], v[32:33], off
	s_wait_xcnt 0x0
	s_and_not1_b32 exec_lo, exec_lo, s58
	s_cbranch_execz .LBB6_81
.LBB6_76:                               ;   Parent Loop BB6_6 Depth=1
                                        ; =>  This Loop Header: Depth=2
                                        ;       Child Loop BB6_78 Depth 3
	v_dual_mov_b32 v33, 0 :: v_dual_mov_b32 v44, 0
	s_and_saveexec_b32 s59, vcc_lo
	s_cbranch_execz .LBB6_75
; %bb.77:                               ;   in Loop: Header=BB6_76 Depth=2
	v_mov_b64_e32 v[34:35], v[30:31]
	s_delay_alu instid0(VALU_DEP_3)
	v_mov_b64_e32 v[36:37], v[28:29]
	v_dual_mov_b32 v33, 0 :: v_dual_mov_b32 v32, v2
	v_mov_b32_e32 v44, 0
	s_mov_b32 s60, 0
.LBB6_78:                               ;   Parent Loop BB6_6 Depth=1
                                        ;     Parent Loop BB6_76 Depth=2
                                        ; =>    This Inner Loop Header: Depth=3
	global_load_b64 v[46:47], v[34:35], off
	global_load_b64 v[48:49], v[36:37], off offset:-4
	s_wait_xcnt 0x0
	v_add_nc_u64_e32 v[36:37], s[44:45], v[36:37]
	v_add_nc_u64_e32 v[34:35], s[46:47], v[34:35]
	s_wait_loadcnt 0x0
	v_dual_mul_f32 v45, v49, v47 :: v_dual_mul_f32 v47, v48, v47
	s_delay_alu instid0(VALU_DEP_1) | instskip(NEXT) | instid1(VALU_DEP_2)
	v_dual_add_nc_u32 v32, -1, v32 :: v_dual_fma_f32 v45, v48, v46, -v45
	v_fmac_f32_e32 v47, v49, v46
	s_delay_alu instid0(VALU_DEP_2) | instskip(NEXT) | instid1(VALU_DEP_2)
	v_cmp_eq_u32_e64 s6, 0, v32
	v_dual_add_f32 v44, v44, v45 :: v_dual_add_f32 v33, v33, v47
	s_or_b32 s60, s6, s60
	s_delay_alu instid0(SALU_CYCLE_1)
	s_and_not1_b32 exec_lo, exec_lo, s60
	s_cbranch_execnz .LBB6_78
; %bb.79:                               ;   in Loop: Header=BB6_76 Depth=2
	s_or_b32 exec_lo, exec_lo, s60
	s_branch .LBB6_75
.LBB6_80:                               ;   in Loop: Header=BB6_6 Depth=1
                                        ; implicit-def: $sgpr7
                                        ; implicit-def: $vgpr44
                                        ; implicit-def: $vgpr6
	s_cbranch_execnz .LBB6_224
	s_branch .LBB6_227
.LBB6_81:                               ;   in Loop: Header=BB6_6 Depth=1
	s_or_b32 exec_lo, exec_lo, s7
	s_wait_storecnt 0x0
	s_barrier_signal -1
	s_barrier_wait -1
	ds_load_b32 v6, v7 offset:2048
	s_mov_b32 s58, exec_lo
	s_wait_dscnt 0x0
	v_dual_mov_b32 v28, 0 :: v_dual_sub_nc_u32 v29, v6, v2
	v_bfrev_b32_e32 v6, -2
	s_delay_alu instid0(VALU_DEP_2)
	v_cmpx_lt_i32_e64 v0, v29
	s_cbranch_execz .LBB6_85
; %bb.82:                               ;   in Loop: Header=BB6_6 Depth=1
	v_lshlrev_b64_e32 v[26:27], 3, v[2:3]
	v_bfrev_b32_e32 v6, -2
	v_dual_mov_b32 v28, 0 :: v_dual_mov_b32 v30, v0
	s_mov_b32 s59, 0
	s_delay_alu instid0(VALU_DEP_3) | instskip(NEXT) | instid1(VALU_DEP_1)
	v_lshl_add_u64 v[26:27], v[24:25], 3, v[26:27]
	v_add_nc_u64_e32 v[26:27], v[10:11], v[26:27]
.LBB6_83:                               ;   Parent Loop BB6_6 Depth=1
                                        ; =>  This Inner Loop Header: Depth=2
	global_load_b64 v[32:33], v[26:27], off
	s_wait_xcnt 0x0
	v_add_nc_u64_e32 v[26:27], 0x800, v[26:27]
	s_wait_loadcnt 0x0
	v_cmp_gt_f32_e32 vcc_lo, 0, v33
	v_cndmask_b32_e64 v31, v33, -v33, vcc_lo
	v_cmp_gt_f32_e32 vcc_lo, 0, v32
	v_cndmask_b32_e64 v32, v32, -v32, vcc_lo
	v_cmp_eq_u32_e32 vcc_lo, 0x7fffffff, v6
	s_delay_alu instid0(VALU_DEP_2) | instskip(SKIP_1) | instid1(VALU_DEP_2)
	v_dual_add_f32 v31, v32, v31 :: v_dual_add_nc_u32 v32, 1, v30
	v_add_nc_u32_e32 v30, 0x100, v30
	v_cmp_lt_f32_e64 s6, v28, v31
	s_delay_alu instid0(VALU_DEP_2) | instskip(SKIP_1) | instid1(SALU_CYCLE_1)
	v_cmp_ge_i32_e64 s7, v30, v29
	s_or_b32 vcc_lo, s6, vcc_lo
	v_dual_cndmask_b32 v6, v6, v32, vcc_lo :: v_dual_cndmask_b32 v28, v28, v31, vcc_lo
	s_or_b32 s59, s7, s59
	s_delay_alu instid0(SALU_CYCLE_1)
	s_and_not1_b32 exec_lo, exec_lo, s59
	s_cbranch_execnz .LBB6_83
; %bb.84:                               ;   in Loop: Header=BB6_6 Depth=1
	s_or_b32 exec_lo, exec_lo, s59
.LBB6_85:                               ;   in Loop: Header=BB6_6 Depth=1
	s_delay_alu instid0(SALU_CYCLE_1) | instskip(NEXT) | instid1(SALU_CYCLE_1)
	s_or_b32 exec_lo, exec_lo, s58
	s_mov_b32 s58, exec_lo
	ds_store_b32 v39, v28
	ds_store_b32 v38, v6
	s_wait_dscnt 0x0
	s_barrier_signal -1
	s_barrier_wait -1
	v_cmpx_lt_i32_e32 1, v29
	s_cbranch_execz .LBB6_121
; %bb.86:                               ;   in Loop: Header=BB6_6 Depth=1
	s_and_saveexec_b32 s7, s0
	s_cbranch_execz .LBB6_92
; %bb.87:                               ;   in Loop: Header=BB6_6 Depth=1
	ds_load_b32 v26, v39 offset:512
	ds_load_b32 v27, v38 offset:512
	s_mov_b32 s60, exec_lo
	s_wait_dscnt 0x1
	v_cmp_lt_f32_e64 s59, v28, v26
	v_cmpx_nlt_f32_e32 v28, v26
	s_cbranch_execz .LBB6_89
; %bb.88:                               ;   in Loop: Header=BB6_6 Depth=1
	v_cmp_eq_f32_e32 vcc_lo, v28, v26
	s_wait_dscnt 0x0
	v_cmp_gt_i32_e64 s6, v6, v27
	s_and_not1_b32 s59, s59, exec_lo
	s_and_b32 s6, vcc_lo, s6
	s_delay_alu instid0(SALU_CYCLE_1) | instskip(NEXT) | instid1(SALU_CYCLE_1)
	s_and_b32 s6, s6, exec_lo
	s_or_b32 s59, s59, s6
.LBB6_89:                               ;   in Loop: Header=BB6_6 Depth=1
	s_or_b32 exec_lo, exec_lo, s60
	s_and_saveexec_b32 s6, s59
	s_cbranch_execz .LBB6_91
; %bb.90:                               ;   in Loop: Header=BB6_6 Depth=1
	s_wait_dscnt 0x0
	v_dual_mov_b32 v28, v26 :: v_dual_mov_b32 v6, v27
	ds_store_b32 v39, v26
	ds_store_b32 v38, v27
.LBB6_91:                               ;   in Loop: Header=BB6_6 Depth=1
	s_or_b32 exec_lo, exec_lo, s6
.LBB6_92:                               ;   in Loop: Header=BB6_6 Depth=1
	s_delay_alu instid0(SALU_CYCLE_1)
	s_or_b32 exec_lo, exec_lo, s7
	s_wait_dscnt 0x0
	s_barrier_signal -1
	s_barrier_wait -1
	s_and_saveexec_b32 s7, s1
	s_cbranch_execz .LBB6_98
; %bb.93:                               ;   in Loop: Header=BB6_6 Depth=1
	ds_load_b32 v26, v39 offset:256
	ds_load_b32 v27, v38 offset:256
	s_mov_b32 s60, exec_lo
	s_wait_dscnt 0x1
	v_cmp_lt_f32_e64 s59, v28, v26
	v_cmpx_nlt_f32_e32 v28, v26
	s_cbranch_execz .LBB6_95
; %bb.94:                               ;   in Loop: Header=BB6_6 Depth=1
	v_cmp_eq_f32_e32 vcc_lo, v28, v26
	s_wait_dscnt 0x0
	v_cmp_gt_i32_e64 s6, v6, v27
	s_and_not1_b32 s59, s59, exec_lo
	s_and_b32 s6, vcc_lo, s6
	s_delay_alu instid0(SALU_CYCLE_1) | instskip(NEXT) | instid1(SALU_CYCLE_1)
	s_and_b32 s6, s6, exec_lo
	s_or_b32 s59, s59, s6
.LBB6_95:                               ;   in Loop: Header=BB6_6 Depth=1
	s_or_b32 exec_lo, exec_lo, s60
	s_and_saveexec_b32 s6, s59
	s_cbranch_execz .LBB6_97
; %bb.96:                               ;   in Loop: Header=BB6_6 Depth=1
	s_wait_dscnt 0x0
	v_dual_mov_b32 v28, v26 :: v_dual_mov_b32 v6, v27
	ds_store_b32 v39, v26
	ds_store_b32 v38, v27
.LBB6_97:                               ;   in Loop: Header=BB6_6 Depth=1
	s_or_b32 exec_lo, exec_lo, s6
.LBB6_98:                               ;   in Loop: Header=BB6_6 Depth=1
	s_delay_alu instid0(SALU_CYCLE_1)
	s_or_b32 exec_lo, exec_lo, s7
	s_wait_dscnt 0x0
	s_barrier_signal -1
	s_barrier_wait -1
	s_and_b32 exec_lo, exec_lo, s3
	s_cbranch_execz .LBB6_121
; %bb.99:                               ;   in Loop: Header=BB6_6 Depth=1
	ds_load_b32 v26, v39 offset:128
	ds_load_b32 v27, v38 offset:128
	s_mov_b32 s59, exec_lo
	s_wait_dscnt 0x1
	v_cmp_lt_f32_e64 s7, v28, v26
	v_cmpx_nlt_f32_e32 v28, v26
	s_cbranch_execz .LBB6_101
; %bb.100:                              ;   in Loop: Header=BB6_6 Depth=1
	v_cmp_eq_f32_e32 vcc_lo, v28, v26
	s_wait_dscnt 0x0
	v_cmp_gt_i32_e64 s6, v6, v27
	s_and_not1_b32 s7, s7, exec_lo
	s_and_b32 s6, vcc_lo, s6
	s_delay_alu instid0(SALU_CYCLE_1) | instskip(NEXT) | instid1(SALU_CYCLE_1)
	s_and_b32 s6, s6, exec_lo
	s_or_b32 s7, s7, s6
.LBB6_101:                              ;   in Loop: Header=BB6_6 Depth=1
	s_or_b32 exec_lo, exec_lo, s59
	s_and_saveexec_b32 s6, s7
	s_cbranch_execz .LBB6_103
; %bb.102:                              ;   in Loop: Header=BB6_6 Depth=1
	s_wait_dscnt 0x0
	v_dual_mov_b32 v6, v27 :: v_dual_mov_b32 v28, v26
	ds_store_b32 v39, v26
	ds_store_b32 v38, v27
.LBB6_103:                              ;   in Loop: Header=BB6_6 Depth=1
	s_or_b32 exec_lo, exec_lo, s6
	ds_load_b32 v26, v39 offset:64
	s_wait_dscnt 0x1
	ds_load_b32 v27, v38 offset:64
	s_mov_b32 s59, exec_lo
	s_wait_dscnt 0x1
	v_cmp_lt_f32_e64 s7, v28, v26
	v_cmpx_nlt_f32_e32 v28, v26
	s_cbranch_execz .LBB6_105
; %bb.104:                              ;   in Loop: Header=BB6_6 Depth=1
	v_cmp_eq_f32_e32 vcc_lo, v28, v26
	s_wait_dscnt 0x0
	v_cmp_gt_i32_e64 s6, v6, v27
	s_and_not1_b32 s7, s7, exec_lo
	s_and_b32 s6, vcc_lo, s6
	s_delay_alu instid0(SALU_CYCLE_1) | instskip(NEXT) | instid1(SALU_CYCLE_1)
	s_and_b32 s6, s6, exec_lo
	s_or_b32 s7, s7, s6
.LBB6_105:                              ;   in Loop: Header=BB6_6 Depth=1
	s_or_b32 exec_lo, exec_lo, s59
	s_and_saveexec_b32 s6, s7
	s_cbranch_execz .LBB6_107
; %bb.106:                              ;   in Loop: Header=BB6_6 Depth=1
	s_wait_dscnt 0x0
	v_dual_mov_b32 v6, v27 :: v_dual_mov_b32 v28, v26
	ds_store_b32 v39, v26
	ds_store_b32 v38, v27
.LBB6_107:                              ;   in Loop: Header=BB6_6 Depth=1
	s_or_b32 exec_lo, exec_lo, s6
	ds_load_b32 v26, v39 offset:32
	s_wait_dscnt 0x1
	ds_load_b32 v27, v38 offset:32
	s_mov_b32 s59, exec_lo
	s_wait_dscnt 0x1
	v_cmp_lt_f32_e64 s7, v28, v26
	v_cmpx_nlt_f32_e32 v28, v26
	s_cbranch_execz .LBB6_109
; %bb.108:                              ;   in Loop: Header=BB6_6 Depth=1
	v_cmp_eq_f32_e32 vcc_lo, v28, v26
	s_wait_dscnt 0x0
	v_cmp_gt_i32_e64 s6, v6, v27
	s_and_not1_b32 s7, s7, exec_lo
	s_and_b32 s6, vcc_lo, s6
	s_delay_alu instid0(SALU_CYCLE_1) | instskip(NEXT) | instid1(SALU_CYCLE_1)
	s_and_b32 s6, s6, exec_lo
	s_or_b32 s7, s7, s6
.LBB6_109:                              ;   in Loop: Header=BB6_6 Depth=1
	s_or_b32 exec_lo, exec_lo, s59
	s_and_saveexec_b32 s6, s7
	s_cbranch_execz .LBB6_111
; %bb.110:                              ;   in Loop: Header=BB6_6 Depth=1
	s_wait_dscnt 0x0
	v_dual_mov_b32 v6, v27 :: v_dual_mov_b32 v28, v26
	ds_store_b32 v39, v26
	ds_store_b32 v38, v27
.LBB6_111:                              ;   in Loop: Header=BB6_6 Depth=1
	s_or_b32 exec_lo, exec_lo, s6
	ds_load_b32 v26, v39 offset:16
	s_wait_dscnt 0x1
	ds_load_b32 v27, v38 offset:16
	s_mov_b32 s59, exec_lo
	s_wait_dscnt 0x1
	v_cmp_lt_f32_e64 s7, v28, v26
	v_cmpx_nlt_f32_e32 v28, v26
	s_cbranch_execz .LBB6_113
; %bb.112:                              ;   in Loop: Header=BB6_6 Depth=1
	v_cmp_eq_f32_e32 vcc_lo, v28, v26
	s_wait_dscnt 0x0
	v_cmp_gt_i32_e64 s6, v6, v27
	s_and_not1_b32 s7, s7, exec_lo
	s_and_b32 s6, vcc_lo, s6
	s_delay_alu instid0(SALU_CYCLE_1) | instskip(NEXT) | instid1(SALU_CYCLE_1)
	s_and_b32 s6, s6, exec_lo
	s_or_b32 s7, s7, s6
.LBB6_113:                              ;   in Loop: Header=BB6_6 Depth=1
	s_or_b32 exec_lo, exec_lo, s59
	s_and_saveexec_b32 s6, s7
	s_cbranch_execz .LBB6_115
; %bb.114:                              ;   in Loop: Header=BB6_6 Depth=1
	s_wait_dscnt 0x0
	v_dual_mov_b32 v6, v27 :: v_dual_mov_b32 v28, v26
	ds_store_b32 v39, v26
	ds_store_b32 v38, v27
.LBB6_115:                              ;   in Loop: Header=BB6_6 Depth=1
	s_or_b32 exec_lo, exec_lo, s6
	ds_load_b32 v26, v39 offset:8
	s_wait_dscnt 0x1
	ds_load_b32 v27, v38 offset:8
	s_mov_b32 s59, exec_lo
	s_wait_dscnt 0x1
	v_cmp_lt_f32_e64 s7, v28, v26
	v_cmpx_nlt_f32_e32 v28, v26
	s_cbranch_execz .LBB6_117
; %bb.116:                              ;   in Loop: Header=BB6_6 Depth=1
	v_cmp_eq_f32_e32 vcc_lo, v28, v26
	s_wait_dscnt 0x0
	v_cmp_gt_i32_e64 s6, v6, v27
	s_and_not1_b32 s7, s7, exec_lo
	s_and_b32 s6, vcc_lo, s6
	s_delay_alu instid0(SALU_CYCLE_1) | instskip(NEXT) | instid1(SALU_CYCLE_1)
	s_and_b32 s6, s6, exec_lo
	s_or_b32 s7, s7, s6
.LBB6_117:                              ;   in Loop: Header=BB6_6 Depth=1
	s_or_b32 exec_lo, exec_lo, s59
	s_and_saveexec_b32 s6, s7
	s_cbranch_execz .LBB6_119
; %bb.118:                              ;   in Loop: Header=BB6_6 Depth=1
	s_wait_dscnt 0x0
	v_dual_mov_b32 v6, v27 :: v_dual_mov_b32 v28, v26
	ds_store_b32 v39, v26
	ds_store_b32 v38, v27
.LBB6_119:                              ;   in Loop: Header=BB6_6 Depth=1
	s_or_b32 exec_lo, exec_lo, s6
	ds_load_b32 v26, v39 offset:4
	s_wait_dscnt 0x1
	ds_load_b32 v27, v38 offset:4
	s_wait_dscnt 0x1
	v_cmp_eq_f32_e32 vcc_lo, v28, v26
	s_wait_dscnt 0x0
	v_cmp_gt_i32_e64 s6, v6, v27
	v_cmp_lt_f32_e64 s7, v28, v26
	s_and_b32 s6, vcc_lo, s6
	s_delay_alu instid0(SALU_CYCLE_1) | instskip(NEXT) | instid1(SALU_CYCLE_1)
	s_or_b32 s6, s7, s6
	s_and_b32 exec_lo, exec_lo, s6
	s_cbranch_execz .LBB6_121
; %bb.120:                              ;   in Loop: Header=BB6_6 Depth=1
	ds_store_b32 v39, v26
	ds_store_b32 v38, v27
.LBB6_121:                              ;   in Loop: Header=BB6_6 Depth=1
	s_or_b32 exec_lo, exec_lo, s58
	s_and_saveexec_b32 s6, s2
	s_cbranch_execz .LBB6_123
; %bb.122:                              ;   in Loop: Header=BB6_6 Depth=1
	ds_load_b32 v6, v7 offset:1024
	s_wait_dscnt 0x0
	ds_store_b32 v7, v6 offset:2064
.LBB6_123:                              ;   in Loop: Header=BB6_6 Depth=1
	s_or_b32 exec_lo, exec_lo, s6
	ds_load_b32 v6, v7 offset:2048
	s_wait_dscnt 0x0
	v_cmp_le_i32_e32 vcc_lo, s52, v6
	v_readfirstlane_b32 s6, v6
	s_cbranch_vccnz .LBB6_168
; %bb.124:                              ;   in Loop: Header=BB6_6 Depth=1
	v_bfrev_b32_e32 v6, -2
	v_mov_b32_e32 v28, 0
	s_not_b32 s7, s6
	s_mov_b32 s59, exec_lo
	s_add_co_i32 s58, s20, s7
	s_delay_alu instid0(SALU_CYCLE_1)
	v_cmpx_gt_i32_e64 s58, v0
	s_cbranch_execz .LBB6_128
; %bb.125:                              ;   in Loop: Header=BB6_6 Depth=1
	v_lshlrev_b64_e32 v[26:27], 3, v[24:25]
	s_ashr_i32 s7, s6, 31
	v_bfrev_b32_e32 v6, -2
	v_dual_mov_b32 v28, 0 :: v_dual_mov_b32 v25, v0
	s_mov_b32 s60, 0
	s_delay_alu instid0(VALU_DEP_3) | instskip(NEXT) | instid1(VALU_DEP_1)
	v_lshl_add_u64 v[26:27], s[6:7], 3, v[26:27]
	v_add_nc_u64_e32 v[26:27], v[14:15], v[26:27]
.LBB6_126:                              ;   Parent Loop BB6_6 Depth=1
                                        ; =>  This Inner Loop Header: Depth=2
	global_load_b64 v[30:31], v[26:27], off
	s_wait_xcnt 0x0
	v_add_nc_u64_e32 v[26:27], 0x800, v[26:27]
	s_wait_loadcnt 0x0
	v_cmp_gt_f32_e32 vcc_lo, 0, v31
	v_cndmask_b32_e64 v29, v31, -v31, vcc_lo
	v_cmp_gt_f32_e32 vcc_lo, 0, v30
	v_cndmask_b32_e64 v30, v30, -v30, vcc_lo
	v_cmp_eq_u32_e32 vcc_lo, 0x7fffffff, v6
	s_delay_alu instid0(VALU_DEP_2) | instskip(SKIP_1) | instid1(VALU_DEP_2)
	v_add_f32_e32 v29, v30, v29
	v_add_nc_u32_e32 v30, 1, v25
	v_cmp_lt_f32_e64 s6, v28, v29
	s_or_b32 vcc_lo, s6, vcc_lo
	v_dual_cndmask_b32 v6, v6, v30 :: v_dual_add_nc_u32 v25, 0x100, v25
	v_cndmask_b32_e32 v28, v28, v29, vcc_lo
	s_delay_alu instid0(VALU_DEP_2) | instskip(SKIP_1) | instid1(SALU_CYCLE_1)
	v_cmp_le_i32_e64 s7, s58, v25
	s_or_b32 s60, s7, s60
	s_and_not1_b32 exec_lo, exec_lo, s60
	s_cbranch_execnz .LBB6_126
; %bb.127:                              ;   in Loop: Header=BB6_6 Depth=1
	s_or_b32 exec_lo, exec_lo, s60
.LBB6_128:                              ;   in Loop: Header=BB6_6 Depth=1
	s_delay_alu instid0(SALU_CYCLE_1)
	s_or_b32 exec_lo, exec_lo, s59
	s_cmp_lt_i32 s58, 2
	ds_store_b32 v39, v28
	ds_store_b32 v38, v6
	s_wait_dscnt 0x0
	s_barrier_signal -1
	s_barrier_wait -1
	s_cbranch_scc1 .LBB6_165
; %bb.129:                              ;   in Loop: Header=BB6_6 Depth=1
	s_and_saveexec_b32 s7, s0
	s_cbranch_execz .LBB6_135
; %bb.130:                              ;   in Loop: Header=BB6_6 Depth=1
	ds_load_b32 v25, v39 offset:512
	ds_load_b32 v26, v38 offset:512
	s_mov_b32 s59, exec_lo
	s_wait_dscnt 0x1
	v_cmp_lt_f32_e64 s58, v28, v25
	v_cmpx_nlt_f32_e32 v28, v25
	s_cbranch_execz .LBB6_132
; %bb.131:                              ;   in Loop: Header=BB6_6 Depth=1
	v_cmp_eq_f32_e32 vcc_lo, v28, v25
	s_wait_dscnt 0x0
	v_cmp_gt_i32_e64 s6, v6, v26
	s_and_not1_b32 s58, s58, exec_lo
	s_and_b32 s6, vcc_lo, s6
	s_delay_alu instid0(SALU_CYCLE_1) | instskip(NEXT) | instid1(SALU_CYCLE_1)
	s_and_b32 s6, s6, exec_lo
	s_or_b32 s58, s58, s6
.LBB6_132:                              ;   in Loop: Header=BB6_6 Depth=1
	s_or_b32 exec_lo, exec_lo, s59
	s_and_saveexec_b32 s6, s58
	s_cbranch_execz .LBB6_134
; %bb.133:                              ;   in Loop: Header=BB6_6 Depth=1
	s_wait_dscnt 0x0
	v_dual_mov_b32 v28, v25 :: v_dual_mov_b32 v6, v26
	ds_store_b32 v39, v25
	ds_store_b32 v38, v26
.LBB6_134:                              ;   in Loop: Header=BB6_6 Depth=1
	s_or_b32 exec_lo, exec_lo, s6
.LBB6_135:                              ;   in Loop: Header=BB6_6 Depth=1
	s_delay_alu instid0(SALU_CYCLE_1)
	s_or_b32 exec_lo, exec_lo, s7
	s_wait_dscnt 0x0
	s_barrier_signal -1
	s_barrier_wait -1
	s_and_saveexec_b32 s7, s1
	s_cbranch_execz .LBB6_141
; %bb.136:                              ;   in Loop: Header=BB6_6 Depth=1
	ds_load_b32 v25, v39 offset:256
	ds_load_b32 v26, v38 offset:256
	s_mov_b32 s59, exec_lo
	s_wait_dscnt 0x1
	v_cmp_lt_f32_e64 s58, v28, v25
	v_cmpx_nlt_f32_e32 v28, v25
	s_cbranch_execz .LBB6_138
; %bb.137:                              ;   in Loop: Header=BB6_6 Depth=1
	v_cmp_eq_f32_e32 vcc_lo, v28, v25
	s_wait_dscnt 0x0
	v_cmp_gt_i32_e64 s6, v6, v26
	s_and_not1_b32 s58, s58, exec_lo
	s_and_b32 s6, vcc_lo, s6
	s_delay_alu instid0(SALU_CYCLE_1) | instskip(NEXT) | instid1(SALU_CYCLE_1)
	s_and_b32 s6, s6, exec_lo
	s_or_b32 s58, s58, s6
.LBB6_138:                              ;   in Loop: Header=BB6_6 Depth=1
	s_or_b32 exec_lo, exec_lo, s59
	s_and_saveexec_b32 s6, s58
	s_cbranch_execz .LBB6_140
; %bb.139:                              ;   in Loop: Header=BB6_6 Depth=1
	s_wait_dscnt 0x0
	v_dual_mov_b32 v28, v25 :: v_dual_mov_b32 v6, v26
	ds_store_b32 v39, v25
	ds_store_b32 v38, v26
.LBB6_140:                              ;   in Loop: Header=BB6_6 Depth=1
	s_or_b32 exec_lo, exec_lo, s6
.LBB6_141:                              ;   in Loop: Header=BB6_6 Depth=1
	s_delay_alu instid0(SALU_CYCLE_1)
	s_or_b32 exec_lo, exec_lo, s7
	s_wait_dscnt 0x0
	s_barrier_signal -1
	s_barrier_wait -1
	s_and_saveexec_b32 s58, s3
	s_cbranch_execz .LBB6_164
; %bb.142:                              ;   in Loop: Header=BB6_6 Depth=1
	ds_load_b32 v25, v39 offset:128
	ds_load_b32 v26, v38 offset:128
	s_mov_b32 s59, exec_lo
	s_wait_dscnt 0x1
	v_cmp_lt_f32_e64 s7, v28, v25
	v_cmpx_nlt_f32_e32 v28, v25
	s_cbranch_execz .LBB6_144
; %bb.143:                              ;   in Loop: Header=BB6_6 Depth=1
	v_cmp_eq_f32_e32 vcc_lo, v28, v25
	s_wait_dscnt 0x0
	v_cmp_gt_i32_e64 s6, v6, v26
	s_and_not1_b32 s7, s7, exec_lo
	s_and_b32 s6, vcc_lo, s6
	s_delay_alu instid0(SALU_CYCLE_1) | instskip(NEXT) | instid1(SALU_CYCLE_1)
	s_and_b32 s6, s6, exec_lo
	s_or_b32 s7, s7, s6
.LBB6_144:                              ;   in Loop: Header=BB6_6 Depth=1
	s_or_b32 exec_lo, exec_lo, s59
	s_and_saveexec_b32 s6, s7
	s_cbranch_execz .LBB6_146
; %bb.145:                              ;   in Loop: Header=BB6_6 Depth=1
	s_wait_dscnt 0x0
	v_dual_mov_b32 v6, v26 :: v_dual_mov_b32 v28, v25
	ds_store_b32 v39, v25
	ds_store_b32 v38, v26
.LBB6_146:                              ;   in Loop: Header=BB6_6 Depth=1
	s_or_b32 exec_lo, exec_lo, s6
	ds_load_b32 v25, v39 offset:64
	s_wait_dscnt 0x1
	ds_load_b32 v26, v38 offset:64
	s_mov_b32 s59, exec_lo
	s_wait_dscnt 0x1
	v_cmp_lt_f32_e64 s7, v28, v25
	v_cmpx_nlt_f32_e32 v28, v25
	s_cbranch_execz .LBB6_148
; %bb.147:                              ;   in Loop: Header=BB6_6 Depth=1
	v_cmp_eq_f32_e32 vcc_lo, v28, v25
	s_wait_dscnt 0x0
	v_cmp_gt_i32_e64 s6, v6, v26
	s_and_not1_b32 s7, s7, exec_lo
	s_and_b32 s6, vcc_lo, s6
	s_delay_alu instid0(SALU_CYCLE_1) | instskip(NEXT) | instid1(SALU_CYCLE_1)
	s_and_b32 s6, s6, exec_lo
	s_or_b32 s7, s7, s6
.LBB6_148:                              ;   in Loop: Header=BB6_6 Depth=1
	s_or_b32 exec_lo, exec_lo, s59
	s_and_saveexec_b32 s6, s7
	s_cbranch_execz .LBB6_150
; %bb.149:                              ;   in Loop: Header=BB6_6 Depth=1
	s_wait_dscnt 0x0
	v_dual_mov_b32 v6, v26 :: v_dual_mov_b32 v28, v25
	ds_store_b32 v39, v25
	ds_store_b32 v38, v26
.LBB6_150:                              ;   in Loop: Header=BB6_6 Depth=1
	s_or_b32 exec_lo, exec_lo, s6
	ds_load_b32 v25, v39 offset:32
	s_wait_dscnt 0x1
	;; [unrolled: 28-line block ×5, first 2 shown]
	ds_load_b32 v26, v38 offset:4
	s_wait_dscnt 0x1
	v_cmp_eq_f32_e32 vcc_lo, v28, v25
	s_wait_dscnt 0x0
	v_cmp_gt_i32_e64 s6, v6, v26
	v_cmp_lt_f32_e64 s7, v28, v25
	s_and_b32 s6, vcc_lo, s6
	s_delay_alu instid0(SALU_CYCLE_1) | instskip(NEXT) | instid1(SALU_CYCLE_1)
	s_or_b32 s6, s7, s6
	s_and_b32 exec_lo, exec_lo, s6
	s_cbranch_execz .LBB6_164
; %bb.163:                              ;   in Loop: Header=BB6_6 Depth=1
	ds_store_b32 v39, v25
	ds_store_b32 v38, v26
.LBB6_164:                              ;   in Loop: Header=BB6_6 Depth=1
	s_or_b32 exec_lo, exec_lo, s58
.LBB6_165:                              ;   in Loop: Header=BB6_6 Depth=1
	s_and_saveexec_b32 s6, s2
	s_cbranch_execz .LBB6_167
; %bb.166:                              ;   in Loop: Header=BB6_6 Depth=1
	ds_load_b32 v6, v7 offset:2064
	ds_load_b32 v25, v7 offset:1024
	s_wait_dscnt 0x0
	v_cmp_lt_f32_e32 vcc_lo, v6, v25
	v_cndmask_b32_e32 v6, v6, v25, vcc_lo
	ds_store_b32 v7, v6 offset:2064
.LBB6_167:                              ;   in Loop: Header=BB6_6 Depth=1
	s_or_b32 exec_lo, exec_lo, s6
.LBB6_168:                              ;   in Loop: Header=BB6_6 Depth=1
	s_wait_dscnt 0x0
	s_barrier_signal -1
	s_barrier_wait -1
	ds_load_b64 v[26:27], v7 offset:2056
	ds_load_b32 v6, v7 offset:2064
	s_wait_dscnt 0x0
	v_div_scale_f32 v25, null, v6, v6, v27
	s_delay_alu instid0(VALU_DEP_1)
	v_rcp_f32_e32 v28, v25
	v_nop
	v_xor_b32_e32 v25, 0x80000000, v25
	s_delay_alu instid0(TRANS32_DEP_1) | instid1(VALU_DEP_1)
	v_fma_f32 v29, v25, v28, 1.0
	s_delay_alu instid0(VALU_DEP_1) | instskip(SKIP_1) | instid1(VALU_DEP_1)
	v_fmac_f32_e32 v28, v29, v28
	v_div_scale_f32 v29, vcc_lo, v27, v6, v27
	v_mul_f32_e32 v30, v29, v28
	s_delay_alu instid0(VALU_DEP_1) | instskip(NEXT) | instid1(VALU_DEP_1)
	v_fma_f32 v31, v25, v30, v29
	v_fmac_f32_e32 v30, v31, v28
	s_delay_alu instid0(VALU_DEP_1) | instskip(NEXT) | instid1(VALU_DEP_1)
	v_fmac_f32_e32 v29, v25, v30
	v_div_fmas_f32 v25, v29, v28, v30
	v_mul_f32_e32 v28, 0x3f23f07b, v27
	s_delay_alu instid0(VALU_DEP_2) | instskip(NEXT) | instid1(VALU_DEP_1)
	v_div_fixup_f32 v25, v25, v6, v27
	v_mul_f32_e32 v25, v28, v25
	s_delay_alu instid0(VALU_DEP_1)
	v_cmp_ge_f32_e32 vcc_lo, v26, v25
	s_cbranch_vccnz .LBB6_175
; %bb.169:                              ;   in Loop: Header=BB6_6 Depth=1
	ds_load_b32 v44, v7 offset:2048
	s_mov_b32 s58, 0
	s_wait_dscnt 0x0
	v_add_nc_u32_e32 v25, v44, v24
	global_load_b64 v[26:27], v25, s[22:23] scale_offset
	s_wait_loadcnt 0x0
	v_cmp_gt_f32_e32 vcc_lo, 0, v27
	v_cndmask_b32_e64 v25, v27, -v27, vcc_lo
	v_cmp_gt_f32_e32 vcc_lo, 0, v26
	v_cndmask_b32_e64 v26, v26, -v26, vcc_lo
	s_delay_alu instid0(VALU_DEP_1) | instskip(NEXT) | instid1(VALU_DEP_1)
	v_dual_mul_f32 v6, 0x3f23f07b, v6 :: v_dual_add_f32 v25, v26, v25
	v_cmp_ge_f32_e32 vcc_lo, v25, v6
	v_mov_b32_e32 v6, 2
	s_and_saveexec_b32 s6, vcc_lo
	s_cbranch_execz .LBB6_174
; %bb.170:                              ;   in Loop: Header=BB6_6 Depth=1
	s_and_saveexec_b32 s7, s5
	s_cbranch_execz .LBB6_173
; %bb.171:                              ;   in Loop: Header=BB6_6 Depth=1
	v_mad_u32 v26, s55, v2, v0
	v_add3_u32 v24, v0, v2, v24
	v_mov_b32_e32 v6, v0
	s_mov_b32 s5, 0
	s_delay_alu instid0(VALU_DEP_2) | instskip(NEXT) | instid1(VALU_DEP_1)
	v_dual_ashrrev_i32 v25, 31, v24 :: v_dual_ashrrev_i32 v27, 31, v26
	v_lshl_add_u64 v[24:25], v[24:25], 3, s[36:37]
	s_delay_alu instid0(VALU_DEP_2)
	v_lshl_add_u64 v[26:27], v[26:27], 3, s[36:37]
.LBB6_172:                              ;   Parent Loop BB6_6 Depth=1
                                        ; =>  This Inner Loop Header: Depth=2
	global_load_b64 v[28:29], v[24:25], off
	v_add_nc_u32_e32 v6, 0x100, v6
	s_wait_xcnt 0x0
	v_add_nc_u64_e32 v[24:25], 0x800, v[24:25]
	s_delay_alu instid0(VALU_DEP_2)
	v_cmp_ge_i32_e32 vcc_lo, v6, v43
	s_or_b32 s5, vcc_lo, s5
	s_wait_loadcnt 0x0
	global_store_b64 v[26:27], v[28:29], off
	s_wait_xcnt 0x0
	v_add_nc_u64_e32 v[26:27], 0x800, v[26:27]
	s_and_not1_b32 exec_lo, exec_lo, s5
	s_cbranch_execnz .LBB6_172
.LBB6_173:                              ;   in Loop: Header=BB6_6 Depth=1
	s_or_b32 exec_lo, exec_lo, s7
	v_mov_b32_e32 v6, 1
	s_mov_b32 s58, exec_lo
	s_wait_storecnt 0x0
	s_barrier_signal -1
	s_barrier_wait -1
.LBB6_174:                              ;   in Loop: Header=BB6_6 Depth=1
	s_or_b32 exec_lo, exec_lo, s6
	s_branch .LBB6_176
.LBB6_175:                              ;   in Loop: Header=BB6_6 Depth=1
	v_dual_mov_b32 v6, 1 :: v_dual_mov_b32 v44, v2
	s_mov_b32 s58, -1
.LBB6_176:                              ;   in Loop: Header=BB6_6 Depth=1
	s_delay_alu instid0(VALU_DEP_1) | instskip(SKIP_1) | instid1(VALU_DEP_1)
	v_add_nc_u32_e32 v24, v6, v2
	s_mov_b32 s5, exec_lo
	v_add_nc_u32_e32 v25, -1, v24
	s_delay_alu instid0(VALU_DEP_1)
	v_cmpx_ne_u32_e64 v44, v25
	s_cbranch_execz .LBB6_192
; %bb.177:                              ;   in Loop: Header=BB6_6 Depth=1
	s_and_saveexec_b32 s6, s2
	s_cbranch_execz .LBB6_179
; %bb.178:                              ;   in Loop: Header=BB6_6 Depth=1
	v_mul_lo_u32 v26, v25, s53
	v_mul_lo_u32 v28, v44, s53
	global_load_b64 v[26:27], v26, s[8:9] scale_offset
	s_wait_loadcnt 0x0
	global_store_b64 v28, v[26:27], s[8:9] scale_offset
.LBB6_179:                              ;   in Loop: Header=BB6_6 Depth=1
	s_wait_xcnt 0x0
	s_or_b32 exec_lo, exec_lo, s6
	v_sub_nc_u32_e32 v26, v44, v24
	s_mov_b32 s6, exec_lo
	s_delay_alu instid0(VALU_DEP_1)
	v_cmpx_lt_i32_e64 v0, v26
	s_cbranch_execz .LBB6_182
; %bb.180:                              ;   in Loop: Header=BB6_6 Depth=1
	v_add3_u32 v27, v0, v6, v2
	v_mad_u32 v28, v25, s19, v24
	v_mov_b32_e32 v29, v0
	s_mov_b32 s7, 0
	s_delay_alu instid0(VALU_DEP_3)
	v_mad_u32 v27, s19, v27, v44
.LBB6_181:                              ;   Parent Loop BB6_6 Depth=1
                                        ; =>  This Inner Loop Header: Depth=2
	s_delay_alu instid0(VALU_DEP_2)
	v_add_nc_u32_e32 v30, v28, v29
	v_add_nc_u32_e32 v29, 0x100, v29
	global_load_b64 v[30:31], v30, s[8:9] scale_offset
	v_cmp_ge_i32_e32 vcc_lo, v29, v26
	s_or_b32 s7, vcc_lo, s7
	s_wait_loadcnt 0x0
	global_store_b64 v27, v[30:31], s[8:9] scale_offset
	s_wait_xcnt 0x0
	v_add_nc_u32_e32 v27, s38, v27
	s_and_not1_b32 exec_lo, exec_lo, s7
	s_cbranch_execnz .LBB6_181
.LBB6_182:                              ;   in Loop: Header=BB6_6 Depth=1
	s_or_b32 exec_lo, exec_lo, s6
	v_xad_u32 v26, v44, -1, s20
	s_mov_b32 s6, exec_lo
	s_delay_alu instid0(VALU_DEP_1)
	v_cmpx_lt_i32_e64 v0, v26
	s_cbranch_execz .LBB6_185
; %bb.183:                              ;   in Loop: Header=BB6_6 Depth=1
	v_mul_lo_u32 v27, v25, s19
	v_mad_u32 v25, s53, v44, 1
	v_mov_b32_e32 v28, v0
	s_mov_b32 s7, 0
	s_delay_alu instid0(VALU_DEP_3)
	v_add3_u32 v27, v44, v27, 1
.LBB6_184:                              ;   Parent Loop BB6_6 Depth=1
                                        ; =>  This Inner Loop Header: Depth=2
	s_delay_alu instid0(VALU_DEP_1) | instskip(SKIP_4) | instid1(VALU_DEP_1)
	v_add_nc_u32_e32 v29, v27, v28
	global_load_b64 v[30:31], v29, s[8:9] scale_offset
	s_wait_xcnt 0x0
	v_add_nc_u32_e32 v29, v25, v28
	v_add_nc_u32_e32 v28, 0x100, v28
	v_cmp_ge_i32_e32 vcc_lo, v28, v26
	s_or_b32 s7, vcc_lo, s7
	s_wait_loadcnt 0x0
	global_store_b64 v29, v[30:31], s[8:9] scale_offset
	s_wait_xcnt 0x0
	s_and_not1_b32 exec_lo, exec_lo, s7
	s_cbranch_execnz .LBB6_184
.LBB6_185:                              ;   in Loop: Header=BB6_6 Depth=1
	s_or_b32 exec_lo, exec_lo, s6
	s_delay_alu instid0(SALU_CYCLE_1)
	s_mov_b32 s6, exec_lo
	s_wait_storecnt 0x0
	s_barrier_signal -1
	s_barrier_wait -1
	v_cmpx_lt_u32_e64 v0, v2
	s_cbranch_execz .LBB6_188
; %bb.186:                              ;   in Loop: Header=BB6_6 Depth=1
	v_dual_mov_b32 v26, v5 :: v_dual_ashrrev_i32 v25, 31, v24
	v_mov_b32_e32 v28, v0
	s_mov_b32 s7, 0
.LBB6_187:                              ;   Parent Loop BB6_6 Depth=1
                                        ; =>  This Inner Loop Header: Depth=2
	s_delay_alu instid0(VALU_DEP_2) | instskip(NEXT) | instid1(VALU_DEP_2)
	v_ashrrev_i32_e32 v27, 31, v26
	v_add_nc_u32_e32 v28, 0x100, v28
	s_delay_alu instid0(VALU_DEP_2) | instskip(SKIP_1) | instid1(VALU_DEP_3)
	v_add_nc_u64_e32 v[30:31], v[26:27], v[24:25]
	v_add_nc_u32_e32 v27, v44, v26
	v_cmp_ge_u32_e32 vcc_lo, v28, v2
	v_add_nc_u32_e32 v26, s38, v26
	s_or_b32 s7, vcc_lo, s7
	s_delay_alu instid0(VALU_DEP_4)
	v_lshl_add_u64 v[30:31], v[30:31], 3, s[8:9]
	s_clause 0x1
	global_load_b64 v[32:33], v27, s[8:9] scale_offset
	global_load_b64 v[34:35], v[30:31], off offset:-8
	s_wait_loadcnt 0x1
	global_store_b64 v[30:31], v[32:33], off offset:-8
	s_wait_loadcnt 0x0
	global_store_b64 v27, v[34:35], s[8:9] scale_offset
	s_wait_xcnt 0x0
	s_and_not1_b32 exec_lo, exec_lo, s7
	s_cbranch_execnz .LBB6_187
.LBB6_188:                              ;   in Loop: Header=BB6_6 Depth=1
	s_or_b32 exec_lo, exec_lo, s6
	v_cmp_lt_u32_e32 vcc_lo, v0, v24
	s_and_b32 exec_lo, exec_lo, vcc_lo
	s_cbranch_execz .LBB6_191
; %bb.189:                              ;   in Loop: Header=BB6_6 Depth=1
	v_add_nc_u64_e32 v[26:27], v[8:9], v[6:7]
	v_add_nc_u32_e32 v28, v8, v44
	s_mov_b32 s59, 0
	s_mov_b64 s[6:7], s[22:23]
	s_delay_alu instid0(VALU_DEP_1) | instskip(NEXT) | instid1(VALU_DEP_3)
	v_dual_mov_b32 v6, v0 :: v_dual_ashrrev_i32 v29, 31, v28
	v_add_nc_u64_e32 v[30:31], v[26:27], v[2:3]
	s_delay_alu instid0(VALU_DEP_2) | instskip(NEXT) | instid1(VALU_DEP_2)
	v_lshlrev_b64_e32 v[26:27], 3, v[28:29]
	v_lshl_add_u64 v[28:29], v[30:31], 3, -8
.LBB6_190:                              ;   Parent Loop BB6_6 Depth=1
                                        ; =>  This Inner Loop Header: Depth=2
	s_delay_alu instid0(VALU_DEP_2) | instskip(NEXT) | instid1(VALU_DEP_2)
	v_add_nc_u64_e32 v[30:31], s[6:7], v[26:27]
	v_add_nc_u64_e32 v[32:33], s[6:7], v[28:29]
	v_add_nc_u32_e32 v6, 0x100, v6
	s_add_nc_u64 s[6:7], s[6:7], s[48:49]
	s_clause 0x1
	global_load_b64 v[34:35], v[30:31], off
	global_load_b64 v[36:37], v[32:33], off
	v_cmp_ge_u32_e32 vcc_lo, v6, v24
	s_wait_loadcnt 0x1
	global_store_b64 v[32:33], v[34:35], off
	s_wait_loadcnt 0x0
	global_store_b64 v[30:31], v[36:37], off
	s_or_b32 s59, vcc_lo, s59
	s_wait_xcnt 0x0
	s_and_not1_b32 exec_lo, exec_lo, s59
	s_cbranch_execnz .LBB6_190
.LBB6_191:                              ;   in Loop: Header=BB6_6 Depth=1
	s_wait_storecnt 0x0
	s_barrier_signal -1
	s_barrier_wait -1
.LBB6_192:                              ;   in Loop: Header=BB6_6 Depth=1
	s_or_b32 exec_lo, exec_lo, s5
	s_xor_b32 s5, s58, -1
	s_delay_alu instid0(SALU_CYCLE_1) | instskip(NEXT) | instid1(SALU_CYCLE_1)
	s_and_saveexec_b32 s6, s5
	s_xor_b32 s5, exec_lo, s6
	s_cbranch_execz .LBB6_212
; %bb.193:                              ;   in Loop: Header=BB6_6 Depth=1
	s_mov_b32 s6, exec_lo
	v_cmpx_gt_i32_e64 s54, v2
	s_cbranch_execz .LBB6_209
; %bb.194:                              ;   in Loop: Header=BB6_6 Depth=1
	v_mul_lo_u32 v6, v42, s20
	s_delay_alu instid0(VALU_DEP_1)
	v_lshl_add_u64 v[20:21], v[6:7], 3, v[22:23]
	s_clause 0x1
	global_load_b64 v[20:21], v[20:21], off offset:8
	global_load_b64 v[24:25], v[18:19], off offset:8
	s_wait_loadcnt 0x1
	v_dual_mov_b32 v22, v21 :: v_dual_mov_b32 v23, v20
	s_wait_loadcnt 0x0
	v_cmp_ngt_f32_e64 s7, |v24|, |v25|
                                        ; implicit-def: $vgpr20_vgpr21
	s_and_saveexec_b32 s58, s7
	s_delay_alu instid0(SALU_CYCLE_1)
	s_xor_b32 s58, exec_lo, s58
	s_cbranch_execz .LBB6_196
; %bb.195:                              ;   in Loop: Header=BB6_6 Depth=1
	v_div_scale_f32 v17, null, v25, v25, v24
	v_div_scale_f32 v26, vcc_lo, v24, v25, v24
	s_delay_alu instid0(VALU_DEP_2) | instskip(SKIP_1) | instid1(TRANS32_DEP_1)
	v_rcp_f32_e32 v20, v17
	v_nop
	v_fma_f32 v21, -v17, v20, 1.0
	s_delay_alu instid0(VALU_DEP_1) | instskip(NEXT) | instid1(VALU_DEP_1)
	v_fmac_f32_e32 v20, v21, v20
	v_mul_f32_e32 v21, v26, v20
	s_delay_alu instid0(VALU_DEP_1) | instskip(NEXT) | instid1(VALU_DEP_1)
	v_fma_f32 v27, -v17, v21, v26
	v_fmac_f32_e32 v21, v27, v20
	s_delay_alu instid0(VALU_DEP_1) | instskip(NEXT) | instid1(VALU_DEP_1)
	v_fma_f32 v17, -v17, v21, v26
	v_div_fmas_f32 v17, v17, v20, v21
	s_delay_alu instid0(VALU_DEP_1) | instskip(NEXT) | instid1(VALU_DEP_1)
	v_div_fixup_f32 v20, v17, v25, v24
	v_fma_f32 v17, v24, v20, v25
	s_delay_alu instid0(VALU_DEP_1) | instskip(SKIP_1) | instid1(VALU_DEP_2)
	v_div_scale_f32 v21, null, v17, v17, 1.0
	v_div_scale_f32 v28, vcc_lo, 1.0, v17, 1.0
	v_rcp_f32_e32 v26, v21
	v_nop
	s_delay_alu instid0(TRANS32_DEP_1) | instskip(NEXT) | instid1(VALU_DEP_1)
	v_fma_f32 v27, -v21, v26, 1.0
	v_fmac_f32_e32 v26, v27, v26
	s_delay_alu instid0(VALU_DEP_1) | instskip(NEXT) | instid1(VALU_DEP_1)
	v_mul_f32_e32 v27, v28, v26
	v_fma_f32 v29, -v21, v27, v28
	s_delay_alu instid0(VALU_DEP_1) | instskip(NEXT) | instid1(VALU_DEP_1)
	v_fmac_f32_e32 v27, v29, v26
	v_fma_f32 v21, -v21, v27, v28
	s_delay_alu instid0(VALU_DEP_1) | instskip(SKIP_2) | instid1(VALU_DEP_3)
	v_div_fmas_f32 v28, v21, v26, v27
	v_pk_fma_f32 v[26:27], v[20:21], v[22:23], v[22:23] op_sel:[0,0,1] op_sel_hi:[0,1,0]
	v_pk_fma_f32 v[20:21], v[20:21], v[22:23], v[22:23] op_sel:[0,0,1] op_sel_hi:[0,1,0] neg_lo:[0,0,1] neg_hi:[0,0,1]
	v_div_fixup_f32 v22, v28, v17, 1.0
	s_delay_alu instid0(VALU_DEP_3) | instskip(NEXT) | instid1(VALU_DEP_1)
	v_mov_b32_e32 v21, v27
	v_pk_mul_f32 v[20:21], v[22:23], v[20:21] op_sel_hi:[0,1]
                                        ; implicit-def: $vgpr22_vgpr23
.LBB6_196:                              ;   in Loop: Header=BB6_6 Depth=1
	s_and_not1_saveexec_b32 s58, s58
	s_cbranch_execz .LBB6_198
; %bb.197:                              ;   in Loop: Header=BB6_6 Depth=1
	v_div_scale_f32 v17, null, v24, v24, v25
	v_div_scale_f32 v26, vcc_lo, v25, v24, v25
	s_delay_alu instid0(VALU_DEP_2) | instskip(SKIP_1) | instid1(TRANS32_DEP_1)
	v_rcp_f32_e32 v20, v17
	v_nop
	v_fma_f32 v21, -v17, v20, 1.0
	s_delay_alu instid0(VALU_DEP_1) | instskip(NEXT) | instid1(VALU_DEP_1)
	v_fmac_f32_e32 v20, v21, v20
	v_mul_f32_e32 v21, v26, v20
	s_delay_alu instid0(VALU_DEP_1) | instskip(NEXT) | instid1(VALU_DEP_1)
	v_fma_f32 v27, -v17, v21, v26
	v_fmac_f32_e32 v21, v27, v20
	s_delay_alu instid0(VALU_DEP_1) | instskip(NEXT) | instid1(VALU_DEP_1)
	v_fma_f32 v17, -v17, v21, v26
	v_div_fmas_f32 v17, v17, v20, v21
	s_delay_alu instid0(VALU_DEP_1) | instskip(NEXT) | instid1(VALU_DEP_1)
	v_div_fixup_f32 v20, v17, v24, v25
	v_fma_f32 v17, v25, v20, v24
	s_delay_alu instid0(VALU_DEP_1) | instskip(SKIP_1) | instid1(VALU_DEP_2)
	v_div_scale_f32 v21, null, v17, v17, 1.0
	v_div_scale_f32 v28, vcc_lo, 1.0, v17, 1.0
	v_rcp_f32_e32 v26, v21
	v_nop
	s_delay_alu instid0(TRANS32_DEP_1) | instskip(NEXT) | instid1(VALU_DEP_1)
	v_fma_f32 v27, -v21, v26, 1.0
	v_fmac_f32_e32 v26, v27, v26
	s_delay_alu instid0(VALU_DEP_1) | instskip(NEXT) | instid1(VALU_DEP_1)
	v_mul_f32_e32 v27, v28, v26
	v_fma_f32 v29, -v21, v27, v28
	s_delay_alu instid0(VALU_DEP_1) | instskip(NEXT) | instid1(VALU_DEP_1)
	v_fmac_f32_e32 v27, v29, v26
	v_fma_f32 v21, -v21, v27, v28
	s_delay_alu instid0(VALU_DEP_1) | instskip(SKIP_2) | instid1(VALU_DEP_3)
	v_div_fmas_f32 v28, v21, v26, v27
	v_pk_fma_f32 v[26:27], v[20:21], v[22:23], v[22:23] op_sel:[0,1,0] op_sel_hi:[0,0,1]
	v_pk_fma_f32 v[20:21], v[20:21], v[22:23], v[22:23] op_sel:[0,1,0] op_sel_hi:[0,0,1] neg_lo:[1,0,0] neg_hi:[1,0,0]
	v_div_fixup_f32 v22, v28, v17, 1.0
	s_delay_alu instid0(VALU_DEP_3) | instskip(NEXT) | instid1(VALU_DEP_1)
	v_mov_b32_e32 v21, v27
	v_pk_mul_f32 v[20:21], v[22:23], v[20:21] op_sel_hi:[0,1]
.LBB6_198:                              ;   in Loop: Header=BB6_6 Depth=1
	s_or_b32 exec_lo, exec_lo, s58
	global_load_b64 v[22:23], v[18:19], off
	s_wait_loadcnt 0x0
	v_dual_mov_b32 v26, v23 :: v_dual_mov_b32 v27, v22
                                        ; implicit-def: $vgpr22_vgpr23
	s_and_saveexec_b32 s58, s7
	s_delay_alu instid0(SALU_CYCLE_1)
	s_xor_b32 s7, exec_lo, s58
	s_cbranch_execz .LBB6_200
; %bb.199:                              ;   in Loop: Header=BB6_6 Depth=1
	v_div_scale_f32 v17, null, v25, v25, v24
	v_div_scale_f32 v28, vcc_lo, v24, v25, v24
	s_delay_alu instid0(VALU_DEP_2) | instskip(SKIP_1) | instid1(TRANS32_DEP_1)
	v_rcp_f32_e32 v22, v17
	v_nop
	v_fma_f32 v23, -v17, v22, 1.0
	s_delay_alu instid0(VALU_DEP_1) | instskip(NEXT) | instid1(VALU_DEP_1)
	v_fmac_f32_e32 v22, v23, v22
	v_mul_f32_e32 v23, v28, v22
	s_delay_alu instid0(VALU_DEP_1) | instskip(NEXT) | instid1(VALU_DEP_1)
	v_fma_f32 v29, -v17, v23, v28
	v_fmac_f32_e32 v23, v29, v22
	s_delay_alu instid0(VALU_DEP_1) | instskip(NEXT) | instid1(VALU_DEP_1)
	v_fma_f32 v17, -v17, v23, v28
	v_div_fmas_f32 v17, v17, v22, v23
	s_delay_alu instid0(VALU_DEP_1) | instskip(NEXT) | instid1(VALU_DEP_1)
	v_div_fixup_f32 v22, v17, v25, v24
	v_fma_f32 v17, v24, v22, v25
	s_delay_alu instid0(VALU_DEP_1) | instskip(SKIP_1) | instid1(VALU_DEP_2)
	v_div_scale_f32 v23, null, v17, v17, 1.0
	v_div_scale_f32 v30, vcc_lo, 1.0, v17, 1.0
	v_rcp_f32_e32 v28, v23
	v_nop
	s_delay_alu instid0(TRANS32_DEP_1) | instskip(NEXT) | instid1(VALU_DEP_1)
	v_fma_f32 v29, -v23, v28, 1.0
	v_fmac_f32_e32 v28, v29, v28
	s_delay_alu instid0(VALU_DEP_1) | instskip(NEXT) | instid1(VALU_DEP_1)
	v_mul_f32_e32 v29, v30, v28
	v_fma_f32 v31, -v23, v29, v30
	s_delay_alu instid0(VALU_DEP_1) | instskip(NEXT) | instid1(VALU_DEP_1)
	v_fmac_f32_e32 v29, v31, v28
	v_fma_f32 v23, -v23, v29, v30
	s_delay_alu instid0(VALU_DEP_1) | instskip(SKIP_2) | instid1(VALU_DEP_3)
	v_div_fmas_f32 v30, v23, v28, v29
	v_pk_fma_f32 v[28:29], v[22:23], v[26:27], v[26:27] op_sel:[0,0,1] op_sel_hi:[0,1,0]
	v_pk_fma_f32 v[22:23], v[22:23], v[26:27], v[26:27] op_sel:[0,0,1] op_sel_hi:[1,1,0] neg_lo:[0,0,1] neg_hi:[0,0,1]
	v_div_fixup_f32 v26, v30, v17, 1.0
	s_delay_alu instid0(VALU_DEP_3) | instskip(NEXT) | instid1(VALU_DEP_1)
	v_mov_b32_e32 v23, v29
	v_pk_mul_f32 v[22:23], v[26:27], v[22:23] op_sel_hi:[0,1]
                                        ; implicit-def: $vgpr26_vgpr27
.LBB6_200:                              ;   in Loop: Header=BB6_6 Depth=1
	s_and_not1_saveexec_b32 s7, s7
	s_cbranch_execz .LBB6_202
; %bb.201:                              ;   in Loop: Header=BB6_6 Depth=1
	v_div_scale_f32 v17, null, v24, v24, v25
	v_div_scale_f32 v28, vcc_lo, v25, v24, v25
	s_delay_alu instid0(VALU_DEP_2) | instskip(SKIP_1) | instid1(TRANS32_DEP_1)
	v_rcp_f32_e32 v22, v17
	v_nop
	v_fma_f32 v23, -v17, v22, 1.0
	s_delay_alu instid0(VALU_DEP_1) | instskip(NEXT) | instid1(VALU_DEP_1)
	v_fmac_f32_e32 v22, v23, v22
	v_mul_f32_e32 v23, v28, v22
	s_delay_alu instid0(VALU_DEP_1) | instskip(NEXT) | instid1(VALU_DEP_1)
	v_fma_f32 v29, -v17, v23, v28
	v_fmac_f32_e32 v23, v29, v22
	s_delay_alu instid0(VALU_DEP_1) | instskip(NEXT) | instid1(VALU_DEP_1)
	v_fma_f32 v17, -v17, v23, v28
	v_div_fmas_f32 v17, v17, v22, v23
	s_delay_alu instid0(VALU_DEP_1) | instskip(NEXT) | instid1(VALU_DEP_1)
	v_div_fixup_f32 v22, v17, v24, v25
	v_fma_f32 v17, v25, v22, v24
	s_delay_alu instid0(VALU_DEP_1) | instskip(SKIP_1) | instid1(VALU_DEP_2)
	v_div_scale_f32 v23, null, v17, v17, 1.0
	v_div_scale_f32 v30, vcc_lo, 1.0, v17, 1.0
	v_rcp_f32_e32 v28, v23
	v_nop
	s_delay_alu instid0(TRANS32_DEP_1) | instskip(NEXT) | instid1(VALU_DEP_1)
	v_fma_f32 v29, -v23, v28, 1.0
	v_fmac_f32_e32 v28, v29, v28
	s_delay_alu instid0(VALU_DEP_1) | instskip(NEXT) | instid1(VALU_DEP_1)
	v_mul_f32_e32 v29, v30, v28
	v_fma_f32 v31, -v23, v29, v30
	s_delay_alu instid0(VALU_DEP_1) | instskip(NEXT) | instid1(VALU_DEP_1)
	v_fmac_f32_e32 v29, v31, v28
	v_fma_f32 v23, -v23, v29, v30
	s_delay_alu instid0(VALU_DEP_1) | instskip(SKIP_2) | instid1(VALU_DEP_3)
	v_div_fmas_f32 v30, v23, v28, v29
	v_pk_fma_f32 v[28:29], v[22:23], v[26:27], v[26:27] op_sel:[0,1,0] op_sel_hi:[0,0,1]
	v_pk_fma_f32 v[22:23], v[22:23], v[26:27], v[26:27] op_sel:[0,1,0] op_sel_hi:[1,0,1] neg_lo:[1,0,0] neg_hi:[1,0,0]
	v_div_fixup_f32 v26, v30, v17, 1.0
	s_delay_alu instid0(VALU_DEP_3) | instskip(NEXT) | instid1(VALU_DEP_1)
	v_mov_b32_e32 v23, v29
	v_pk_mul_f32 v[22:23], v[26:27], v[22:23] op_sel_hi:[0,1]
.LBB6_202:                              ;   in Loop: Header=BB6_6 Depth=1
	s_or_b32 exec_lo, exec_lo, s7
	s_delay_alu instid0(VALU_DEP_1) | instskip(NEXT) | instid1(VALU_DEP_2)
	v_dual_mov_b32 v17, v22 :: v_dual_mov_b32 v27, v20
	v_mul_f32_e32 v26, v21, v23
	s_delay_alu instid0(VALU_DEP_2) | instskip(NEXT) | instid1(VALU_DEP_2)
	v_pk_mul_f32 v[28:29], v[20:21], v[16:17]
	v_pk_mul_f32 v[30:31], v[26:27], v[22:23]
	s_delay_alu instid0(VALU_DEP_1) | instskip(SKIP_1) | instid1(VALU_DEP_4)
	v_mov_b32_e32 v17, v31
	v_pk_fma_f32 v[26:27], v[20:21], v[22:23], v[26:27] op_sel_hi:[1,1,0] neg_lo:[1,0,0] neg_hi:[1,0,0]
	v_mov_b32_e32 v27, v29
	s_delay_alu instid0(VALU_DEP_1) | instskip(NEXT) | instid1(VALU_DEP_1)
	v_pk_add_f32 v[26:27], v[26:27], v[16:17]
	v_pk_mul_f32 v[28:29], v[24:25], v[26:27]
	v_pk_mul_f32 v[24:25], v[24:25], v[26:27] op_sel:[0,1] op_sel_hi:[1,0]
	s_delay_alu instid0(VALU_DEP_2) | instskip(NEXT) | instid1(VALU_DEP_2)
	v_sub_f32_e32 v26, v28, v29
	v_add_f32_e32 v17, v24, v25
                                        ; implicit-def: $vgpr24_vgpr25
	s_delay_alu instid0(VALU_DEP_1) | instskip(SKIP_1) | instid1(SALU_CYCLE_1)
	v_cmp_ngt_f32_e64 s7, |v26|, |v17|
	s_and_saveexec_b32 s58, s7
	s_xor_b32 s7, exec_lo, s58
	s_cbranch_execz .LBB6_204
; %bb.203:                              ;   in Loop: Header=BB6_6 Depth=1
	v_div_scale_f32 v24, null, v17, v17, v26
	v_div_scale_f32 v28, vcc_lo, v26, v17, v26
	s_delay_alu instid0(VALU_DEP_2) | instskip(SKIP_1) | instid1(TRANS32_DEP_1)
	v_rcp_f32_e32 v25, v24
	v_nop
	v_fma_f32 v27, -v24, v25, 1.0
	s_delay_alu instid0(VALU_DEP_1) | instskip(NEXT) | instid1(VALU_DEP_1)
	v_fmac_f32_e32 v25, v27, v25
	v_mul_f32_e32 v27, v28, v25
	s_delay_alu instid0(VALU_DEP_1) | instskip(NEXT) | instid1(VALU_DEP_1)
	v_fma_f32 v29, -v24, v27, v28
	v_fmac_f32_e32 v27, v29, v25
	s_delay_alu instid0(VALU_DEP_1) | instskip(NEXT) | instid1(VALU_DEP_1)
	v_fma_f32 v24, -v24, v27, v28
	v_div_fmas_f32 v24, v24, v25, v27
	s_delay_alu instid0(VALU_DEP_1) | instskip(NEXT) | instid1(VALU_DEP_1)
	v_div_fixup_f32 v25, v24, v17, v26
	v_fmac_f32_e32 v17, v26, v25
	s_delay_alu instid0(VALU_DEP_1) | instskip(SKIP_1) | instid1(VALU_DEP_2)
	v_div_scale_f32 v24, null, v17, v17, 1.0
	v_div_scale_f32 v27, vcc_lo, 1.0, v17, 1.0
	v_rcp_f32_e32 v28, v24
	v_nop
	s_delay_alu instid0(TRANS32_DEP_1) | instskip(NEXT) | instid1(VALU_DEP_1)
	v_fma_f32 v26, -v24, v28, 1.0
	v_fmac_f32_e32 v28, v26, v28
	s_delay_alu instid0(VALU_DEP_1) | instskip(NEXT) | instid1(VALU_DEP_1)
	v_mul_f32_e32 v29, v27, v28
	v_fma_f32 v26, -v24, v29, v27
	s_delay_alu instid0(VALU_DEP_1) | instskip(NEXT) | instid1(VALU_DEP_1)
	v_fmac_f32_e32 v29, v26, v28
	v_fma_f32 v24, -v24, v29, v27
	v_mov_b64_e32 v[26:27], s[50:51]
	s_delay_alu instid0(VALU_DEP_2) | instskip(SKIP_1) | instid1(VALU_DEP_2)
	v_div_fmas_f32 v28, v24, v28, v29
	v_mul_f32_e32 v24, 0, v25
	v_div_fixup_f32 v28, v28, v17, 1.0
	s_delay_alu instid0(VALU_DEP_2) | instskip(NEXT) | instid1(VALU_DEP_1)
	v_pk_add_f32 v[24:25], v[24:25], v[26:27]
                                        ; implicit-def: $vgpr26
                                        ; implicit-def: $vgpr17
	v_pk_mul_f32 v[24:25], v[24:25], v[28:29] op_sel_hi:[1,0]
.LBB6_204:                              ;   in Loop: Header=BB6_6 Depth=1
	s_and_not1_saveexec_b32 s7, s7
	s_cbranch_execz .LBB6_206
; %bb.205:                              ;   in Loop: Header=BB6_6 Depth=1
	v_div_scale_f32 v24, null, v26, v26, v17
	v_div_scale_f32 v28, vcc_lo, v17, v26, v17
	s_delay_alu instid0(VALU_DEP_2) | instskip(SKIP_1) | instid1(TRANS32_DEP_1)
	v_rcp_f32_e32 v25, v24
	v_nop
	v_fma_f32 v27, -v24, v25, 1.0
	s_delay_alu instid0(VALU_DEP_1) | instskip(NEXT) | instid1(VALU_DEP_1)
	v_fmac_f32_e32 v25, v27, v25
	v_mul_f32_e32 v27, v28, v25
	s_delay_alu instid0(VALU_DEP_1) | instskip(NEXT) | instid1(VALU_DEP_1)
	v_fma_f32 v29, -v24, v27, v28
	v_fmac_f32_e32 v27, v29, v25
	s_delay_alu instid0(VALU_DEP_1) | instskip(NEXT) | instid1(VALU_DEP_1)
	v_fma_f32 v24, -v24, v27, v28
	v_div_fmas_f32 v24, v24, v25, v27
	s_delay_alu instid0(VALU_DEP_1) | instskip(NEXT) | instid1(VALU_DEP_1)
	v_div_fixup_f32 v24, v24, v26, v17
	v_fmac_f32_e32 v26, v17, v24
	s_delay_alu instid0(VALU_DEP_1) | instskip(SKIP_1) | instid1(VALU_DEP_2)
	v_div_scale_f32 v17, null, v26, v26, 1.0
	v_div_scale_f32 v28, vcc_lo, 1.0, v26, 1.0
	v_rcp_f32_e32 v25, v17
	v_nop
	s_delay_alu instid0(TRANS32_DEP_1) | instskip(NEXT) | instid1(VALU_DEP_1)
	v_fma_f32 v27, -v17, v25, 1.0
	v_fmac_f32_e32 v25, v27, v25
	s_delay_alu instid0(VALU_DEP_1) | instskip(NEXT) | instid1(VALU_DEP_1)
	v_mul_f32_e32 v27, v28, v25
	v_fma_f32 v29, -v17, v27, v28
	s_delay_alu instid0(VALU_DEP_1) | instskip(NEXT) | instid1(VALU_DEP_1)
	v_fmac_f32_e32 v27, v29, v25
	v_fma_f32 v17, -v17, v27, v28
	s_delay_alu instid0(VALU_DEP_1) | instskip(SKIP_1) | instid1(VALU_DEP_2)
	v_div_fmas_f32 v17, v17, v25, v27
	v_dual_mul_f32 v25, 0, v24 :: v_dual_sub_f32 v24, 0, v24
	v_div_fixup_f32 v26, v17, v26, 1.0
	s_delay_alu instid0(VALU_DEP_2) | instskip(NEXT) | instid1(VALU_DEP_1)
	v_add_f32_e32 v25, 1.0, v25
	v_pk_mul_f32 v[24:25], v[24:25], v[26:27] op_sel_hi:[1,0]
.LBB6_206:                              ;   in Loop: Header=BB6_6 Depth=1
	s_or_b32 exec_lo, exec_lo, s7
	v_add_nc_u32_e32 v17, v2, v40
	s_delay_alu instid0(VALU_DEP_1)
	v_cmp_gt_i32_e32 vcc_lo, s20, v17
	s_and_b32 exec_lo, exec_lo, vcc_lo
	s_cbranch_execz .LBB6_209
; %bb.207:                              ;   in Loop: Header=BB6_6 Depth=1
	v_mul_lo_u32 v43, s53, v2
	v_mad_u32 v36, s55, v2, v40
	v_dual_mov_b32 v28, v20 :: v_dual_mov_b32 v29, v20
	v_mov_b32_e32 v20, v21
	v_dual_mov_b32 v31, v22 :: v_dual_add_nc_u32 v6, v17, v6
	v_dual_mov_b32 v26, v24 :: v_dual_mov_b32 v27, v24
	v_dual_mov_b32 v24, v25 :: v_dual_mov_b32 v30, v22
	v_dual_add_nc_u32 v34, v40, v43 :: v_dual_mov_b32 v22, v23
	s_delay_alu instid0(VALU_DEP_4) | instskip(SKIP_2) | instid1(VALU_DEP_3)
	v_lshl_add_u64 v[32:33], v[6:7], 3, s[36:37]
	v_add_nc_u32_e32 v6, v41, v43
	s_mov_b32 s7, 0
	v_dual_ashrrev_i32 v35, 31, v34 :: v_dual_ashrrev_i32 v37, 31, v36
	s_delay_alu instid0(VALU_DEP_1) | instskip(NEXT) | instid1(VALU_DEP_2)
	v_lshl_add_u64 v[34:35], v[34:35], 3, s[40:41]
	v_lshl_add_u64 v[36:37], v[36:37], 3, s[36:37]
.LBB6_208:                              ;   Parent Loop BB6_6 Depth=1
                                        ; =>  This Inner Loop Header: Depth=2
	global_load_b64 v[46:47], v[36:37], off
	global_load_b64 v[48:49], v[32:33], off
	v_add_nc_u32_e32 v17, 0x100, v17
	s_delay_alu instid0(VALU_DEP_1) | instskip(SKIP_3) | instid1(VALU_DEP_1)
	v_cmp_le_i32_e32 vcc_lo, s20, v17
	s_or_b32 s7, vcc_lo, s7
	s_wait_loadcnt 0x1
	v_pk_mul_f32 v[50:51], v[28:29], v[46:47] op_sel:[0,1] op_sel_hi:[1,0]
	v_pk_fma_f32 v[52:53], v[20:21], v[46:47], v[50:51]
	v_pk_fma_f32 v[46:47], v[20:21], v[46:47], v[50:51] neg_lo:[0,0,1] neg_hi:[0,0,1]
	s_delay_alu instid0(VALU_DEP_2) | instskip(SKIP_1) | instid1(VALU_DEP_1)
	v_mov_b32_e32 v47, v53
	s_wait_loadcnt 0x0
	v_pk_add_f32 v[46:47], v[46:47], v[48:49] neg_lo:[0,1] neg_hi:[0,1]
	s_delay_alu instid0(VALU_DEP_1) | instskip(NEXT) | instid1(VALU_DEP_1)
	v_pk_mul_f32 v[48:49], v[26:27], v[46:47]
	v_pk_fma_f32 v[50:51], v[24:25], v[46:47], v[48:49] op_sel:[0,0,1] op_sel_hi:[1,1,0]
	v_pk_fma_f32 v[46:47], v[24:25], v[46:47], v[48:49] op_sel:[0,0,1] op_sel_hi:[1,1,0] neg_lo:[0,0,1] neg_hi:[0,0,1]
	s_delay_alu instid0(VALU_DEP_2)
	v_mov_b32_e32 v47, v51
	global_store_b64 v[34:35], v[46:47], off
	global_load_b64 v[46:47], v[32:33], off
	global_load_b64 v[48:49], v[36:37], off
	v_add_nc_u64_e32 v[34:35], 0x800, v[34:35]
	s_wait_xcnt 0x1
	v_add_nc_u64_e32 v[32:33], 0x800, v[32:33]
	s_wait_xcnt 0x0
	v_add_nc_u64_e32 v[36:37], 0x800, v[36:37]
	s_wait_loadcnt 0x1
	v_pk_mul_f32 v[50:51], v[30:31], v[46:47] op_sel:[0,1] op_sel_hi:[1,0]
	s_delay_alu instid0(VALU_DEP_1) | instskip(SKIP_1) | instid1(VALU_DEP_2)
	v_pk_fma_f32 v[52:53], v[22:23], v[46:47], v[50:51]
	v_pk_fma_f32 v[46:47], v[22:23], v[46:47], v[50:51] neg_lo:[0,0,1] neg_hi:[0,0,1]
	v_mov_b32_e32 v47, v53
	s_wait_loadcnt 0x0
	s_delay_alu instid0(VALU_DEP_1) | instskip(NEXT) | instid1(VALU_DEP_1)
	v_pk_add_f32 v[46:47], v[46:47], v[48:49] neg_lo:[0,1] neg_hi:[0,1]
	v_pk_mul_f32 v[48:49], v[26:27], v[46:47]
	s_delay_alu instid0(VALU_DEP_1) | instskip(SKIP_1) | instid1(VALU_DEP_2)
	v_pk_fma_f32 v[50:51], v[24:25], v[46:47], v[48:49] op_sel:[0,0,1] op_sel_hi:[1,1,0]
	v_pk_fma_f32 v[46:47], v[24:25], v[46:47], v[48:49] op_sel:[0,0,1] op_sel_hi:[1,1,0] neg_lo:[0,0,1] neg_hi:[0,0,1]
	v_mov_b32_e32 v47, v51
	global_store_b64 v6, v[46:47], s[8:9] scale_offset
	s_wait_xcnt 0x0
	v_add_nc_u32_e32 v6, 0x100, v6
	s_and_not1_b32 exec_lo, exec_lo, s7
	s_cbranch_execnz .LBB6_208
.LBB6_209:                              ;   in Loop: Header=BB6_6 Depth=1
	s_or_b32 exec_lo, exec_lo, s6
	s_and_saveexec_b32 s6, s2
	s_cbranch_execz .LBB6_211
; %bb.210:                              ;   in Loop: Header=BB6_6 Depth=1
	global_load_b64 v[20:21], v[18:19], off
	v_mul_lo_u32 v22, v2, s19
	v_lshl_add_u64 v[24:25], v[2:3], 3, s[8:9]
	v_mul_lo_u32 v6, v42, s55
	s_delay_alu instid0(VALU_DEP_3) | instskip(NEXT) | instid1(VALU_DEP_1)
	v_ashrrev_i32_e32 v23, 31, v22
	v_lshl_add_u64 v[22:23], v[22:23], 3, v[24:25]
	s_wait_loadcnt 0x0
	global_store_b64 v[22:23], v[20:21], off
	global_load_b64 v[18:19], v[18:19], off offset:8
	s_wait_loadcnt 0x0
	global_store_b64 v[22:23], v[18:19], off offset:8
	global_load_b64 v[18:19], v6, s[22:23] scale_offset
	s_wait_xcnt 0x0
	v_mul_lo_u32 v6, v42, s53
	s_wait_loadcnt 0x0
	global_store_b64 v6, v[18:19], s[8:9] scale_offset
.LBB6_211:                              ;   in Loop: Header=BB6_6 Depth=1
	s_wait_xcnt 0x0
	s_or_b32 exec_lo, exec_lo, s6
	s_wait_storecnt 0x0
	s_barrier_signal -1
	s_barrier_wait -1
                                        ; implicit-def: $vgpr20_vgpr21
                                        ; implicit-def: $vgpr17
                                        ; implicit-def: $vgpr18_vgpr19
.LBB6_212:                              ;   in Loop: Header=BB6_6 Depth=1
	s_or_saveexec_b32 s6, s5
	v_mov_b32_e32 v6, 2
	s_mov_b32 s5, 0
	s_mov_b32 s7, 0
	s_xor_b32 exec_lo, exec_lo, s6
	s_cbranch_execz .LBB6_223
; %bb.213:                              ;   in Loop: Header=BB6_6 Depth=1
	global_load_b64 v[18:19], v[18:19], off
                                        ; implicit-def: $vgpr22_vgpr23
	s_wait_loadcnt 0x0
	v_cmp_ngt_f32_e64 s7, |v18|, |v19|
	s_and_saveexec_b32 s58, s7
	s_delay_alu instid0(SALU_CYCLE_1)
	s_xor_b32 s7, exec_lo, s58
	s_cbranch_execnz .LBB6_217
; %bb.214:                              ;   in Loop: Header=BB6_6 Depth=1
	s_and_not1_saveexec_b32 s7, s7
	s_cbranch_execnz .LBB6_218
.LBB6_215:                              ;   in Loop: Header=BB6_6 Depth=1
	s_or_b32 exec_lo, exec_lo, s7
	s_and_saveexec_b32 s7, s2
	s_cbranch_execnz .LBB6_219
.LBB6_216:                              ;   in Loop: Header=BB6_6 Depth=1
	s_or_b32 exec_lo, exec_lo, s7
	s_and_saveexec_b32 s7, s4
	s_cbranch_execnz .LBB6_220
	s_branch .LBB6_222
.LBB6_217:                              ;   in Loop: Header=BB6_6 Depth=1
	v_div_scale_f32 v6, null, v19, v19, v18
	v_div_scale_f32 v24, vcc_lo, v18, v19, v18
	s_delay_alu instid0(VALU_DEP_2) | instskip(SKIP_1) | instid1(TRANS32_DEP_1)
	v_rcp_f32_e32 v22, v6
	v_nop
	v_fma_f32 v23, -v6, v22, 1.0
	s_delay_alu instid0(VALU_DEP_1) | instskip(NEXT) | instid1(VALU_DEP_1)
	v_fmac_f32_e32 v22, v23, v22
	v_mul_f32_e32 v23, v24, v22
	s_delay_alu instid0(VALU_DEP_1) | instskip(NEXT) | instid1(VALU_DEP_1)
	v_fma_f32 v25, -v6, v23, v24
	v_fmac_f32_e32 v23, v25, v22
	s_delay_alu instid0(VALU_DEP_1) | instskip(NEXT) | instid1(VALU_DEP_1)
	v_fma_f32 v6, -v6, v23, v24
	v_div_fmas_f32 v6, v6, v22, v23
	s_delay_alu instid0(VALU_DEP_1) | instskip(NEXT) | instid1(VALU_DEP_1)
	v_div_fixup_f32 v23, v6, v19, v18
	v_fma_f32 v6, v18, v23, v19
	s_delay_alu instid0(VALU_DEP_1) | instskip(SKIP_1) | instid1(VALU_DEP_2)
	v_div_scale_f32 v22, null, v6, v6, 1.0
	v_div_scale_f32 v25, vcc_lo, 1.0, v6, 1.0
	v_rcp_f32_e32 v26, v22
	v_nop
	s_delay_alu instid0(TRANS32_DEP_1) | instskip(NEXT) | instid1(VALU_DEP_1)
	v_fma_f32 v24, -v22, v26, 1.0
	v_fmac_f32_e32 v26, v24, v26
	s_delay_alu instid0(VALU_DEP_1) | instskip(NEXT) | instid1(VALU_DEP_1)
	v_mul_f32_e32 v27, v25, v26
	v_fma_f32 v24, -v22, v27, v25
	s_delay_alu instid0(VALU_DEP_1) | instskip(NEXT) | instid1(VALU_DEP_1)
	v_fmac_f32_e32 v27, v24, v26
	v_fma_f32 v22, -v22, v27, v25
	v_mov_b64_e32 v[24:25], s[50:51]
	s_delay_alu instid0(VALU_DEP_2) | instskip(SKIP_1) | instid1(VALU_DEP_2)
	v_div_fmas_f32 v26, v22, v26, v27
	v_mul_f32_e32 v22, 0, v23
	v_div_fixup_f32 v6, v26, v6, 1.0
	s_delay_alu instid0(VALU_DEP_2) | instskip(NEXT) | instid1(VALU_DEP_1)
	v_pk_add_f32 v[22:23], v[22:23], v[24:25]
	v_pk_mul_f32 v[22:23], v[22:23], v[6:7] op_sel_hi:[1,0]
	s_and_not1_saveexec_b32 s7, s7
	s_cbranch_execz .LBB6_215
.LBB6_218:                              ;   in Loop: Header=BB6_6 Depth=1
	v_div_scale_f32 v6, null, v18, v18, v19
	v_div_scale_f32 v24, vcc_lo, v19, v18, v19
	s_delay_alu instid0(VALU_DEP_2) | instskip(SKIP_1) | instid1(TRANS32_DEP_1)
	v_rcp_f32_e32 v22, v6
	v_nop
	v_fma_f32 v23, -v6, v22, 1.0
	s_delay_alu instid0(VALU_DEP_1) | instskip(NEXT) | instid1(VALU_DEP_1)
	v_fmac_f32_e32 v22, v23, v22
	v_mul_f32_e32 v23, v24, v22
	s_delay_alu instid0(VALU_DEP_1) | instskip(NEXT) | instid1(VALU_DEP_1)
	v_fma_f32 v25, -v6, v23, v24
	v_fmac_f32_e32 v23, v25, v22
	s_delay_alu instid0(VALU_DEP_1) | instskip(NEXT) | instid1(VALU_DEP_1)
	v_fma_f32 v6, -v6, v23, v24
	v_div_fmas_f32 v6, v6, v22, v23
	s_delay_alu instid0(VALU_DEP_1) | instskip(NEXT) | instid1(VALU_DEP_1)
	v_div_fixup_f32 v6, v6, v18, v19
	v_fma_f32 v23, v19, v6, v18
	s_delay_alu instid0(VALU_DEP_1) | instskip(SKIP_1) | instid1(VALU_DEP_2)
	v_div_scale_f32 v22, null, v23, v23, 1.0
	v_div_scale_f32 v26, vcc_lo, 1.0, v23, 1.0
	v_rcp_f32_e32 v24, v22
	v_nop
	s_delay_alu instid0(TRANS32_DEP_1) | instskip(NEXT) | instid1(VALU_DEP_1)
	v_fma_f32 v25, -v22, v24, 1.0
	v_fmac_f32_e32 v24, v25, v24
	s_delay_alu instid0(VALU_DEP_1) | instskip(NEXT) | instid1(VALU_DEP_1)
	v_mul_f32_e32 v25, v26, v24
	v_fma_f32 v27, -v22, v25, v26
	s_delay_alu instid0(VALU_DEP_1) | instskip(NEXT) | instid1(VALU_DEP_1)
	v_fmac_f32_e32 v25, v27, v24
	v_fma_f32 v22, -v22, v25, v26
	s_delay_alu instid0(VALU_DEP_1) | instskip(SKIP_1) | instid1(VALU_DEP_2)
	v_div_fmas_f32 v24, v22, v24, v25
	v_dual_mul_f32 v25, 0, v6 :: v_dual_sub_f32 v22, 0, v6
	v_div_fixup_f32 v6, v24, v23, 1.0
	s_delay_alu instid0(VALU_DEP_2) | instskip(NEXT) | instid1(VALU_DEP_1)
	v_add_f32_e32 v23, 1.0, v25
	v_pk_mul_f32 v[22:23], v[22:23], v[6:7] op_sel_hi:[1,0]
	s_or_b32 exec_lo, exec_lo, s7
	s_and_saveexec_b32 s7, s2
	s_cbranch_execz .LBB6_216
.LBB6_219:                              ;   in Loop: Header=BB6_6 Depth=1
	v_mul_lo_u32 v6, v2, s53
	global_store_b64 v6, v[18:19], s[8:9] scale_offset
	s_wait_xcnt 0x0
	s_or_b32 exec_lo, exec_lo, s7
	s_and_saveexec_b32 s7, s4
	s_cbranch_execz .LBB6_222
.LBB6_220:                              ;   in Loop: Header=BB6_6 Depth=1
	v_mul_lo_u32 v18, v2, s19
	v_dual_mov_b32 v24, v22 :: v_dual_mov_b32 v25, v22
	v_dual_mov_b32 v22, v23 :: v_dual_mov_b32 v26, v0
	s_mov_b32 s4, 0
	s_delay_alu instid0(VALU_DEP_3)
	v_ashrrev_i32_e32 v19, 31, v18
.LBB6_221:                              ;   Parent Loop BB6_6 Depth=1
                                        ; =>  This Inner Loop Header: Depth=2
	s_delay_alu instid0(VALU_DEP_2) | instskip(SKIP_1) | instid1(VALU_DEP_2)
	v_add_nc_u32_e32 v6, v2, v26
	v_add_nc_u32_e32 v26, 0x100, v26
	v_add_nc_u64_e32 v[28:29], v[6:7], v[20:21]
	s_delay_alu instid0(VALU_DEP_2) | instskip(SKIP_1) | instid1(VALU_DEP_2)
	v_cmp_ge_i32_e32 vcc_lo, v26, v17
	s_or_b32 s4, vcc_lo, s4
	v_lshl_add_u64 v[28:29], v[28:29], 3, s[22:23]
	global_load_b64 v[28:29], v[28:29], off offset:8
	s_wait_loadcnt 0x0
	v_pk_mul_f32 v[30:31], v[24:25], v[28:29] op_sel:[0,1] op_sel_hi:[1,0]
	s_delay_alu instid0(VALU_DEP_1) | instskip(SKIP_2) | instid1(VALU_DEP_2)
	v_pk_fma_f32 v[34:35], v[22:23], v[28:29], v[30:31]
	s_wait_xcnt 0x0
	v_pk_fma_f32 v[28:29], v[22:23], v[28:29], v[30:31] neg_lo:[0,0,1] neg_hi:[0,0,1]
	v_mov_b32_e32 v29, v35
	v_add_nc_u64_e32 v[32:33], v[6:7], v[18:19]
	s_delay_alu instid0(VALU_DEP_1)
	v_lshl_add_u64 v[32:33], v[32:33], 3, s[8:9]
	global_store_b64 v[32:33], v[28:29], off offset:8
	s_wait_xcnt 0x0
	s_and_not1_b32 exec_lo, exec_lo, s4
	s_cbranch_execnz .LBB6_221
.LBB6_222:                              ;   in Loop: Header=BB6_6 Depth=1
	s_or_b32 exec_lo, exec_lo, s7
	v_mov_b32_e32 v6, 1
	s_mov_b32 s7, exec_lo
	s_wait_storecnt 0x0
	s_barrier_signal -1
	s_barrier_wait -1
.LBB6_223:                              ;   in Loop: Header=BB6_6 Depth=1
	s_or_b32 exec_lo, exec_lo, s6
	s_delay_alu instid0(SALU_CYCLE_1)
	s_and_b32 vcc_lo, exec_lo, s5
	s_cbranch_vccz .LBB6_227
.LBB6_224:                              ;   in Loop: Header=BB6_6 Depth=1
	ds_load_b32 v6, v7 offset:2052
	s_wait_dscnt 0x0
	v_readfirstlane_b32 s4, v6
	s_cmp_eq_u32 s4, 0
	s_cselect_b32 s4, -1, 0
	s_delay_alu instid0(SALU_CYCLE_1) | instskip(NEXT) | instid1(SALU_CYCLE_1)
	s_and_b32 s5, s2, s4
	s_and_saveexec_b32 s4, s5
; %bb.225:                              ;   in Loop: Header=BB6_6 Depth=1
	ds_store_b32 v7, v42 offset:2052
; %bb.226:                              ;   in Loop: Header=BB6_6 Depth=1
	s_or_b32 exec_lo, exec_lo, s4
	v_dual_mov_b32 v6, 1 :: v_dual_mov_b32 v44, v2
	s_mov_b32 s7, -1
.LBB6_227:                              ;   in Loop: Header=BB6_6 Depth=1
	s_and_saveexec_b32 s4, s2
	s_cbranch_execz .LBB6_4
; %bb.228:                              ;   in Loop: Header=BB6_6 Depth=1
	v_lshl_add_u64 v[18:19], v[2:3], 2, s[16:17]
	s_xor_b32 s5, s7, -1
	s_delay_alu instid0(SALU_CYCLE_1) | instskip(NEXT) | instid1(SALU_CYCLE_1)
	s_and_saveexec_b32 s6, s5
	s_xor_b32 s5, exec_lo, s6
	s_cbranch_execz .LBB6_230
; %bb.229:                              ;   in Loop: Header=BB6_6 Depth=1
	v_not_b32_e32 v20, v44
                                        ; implicit-def: $vgpr44
	s_delay_alu instid0(VALU_DEP_1)
	v_mov_b32_e32 v21, v20
	global_store_b64 v[18:19], v[20:21], off
                                        ; implicit-def: $vgpr18_vgpr19
.LBB6_230:                              ;   in Loop: Header=BB6_6 Depth=1
	s_wait_xcnt 0x0
	s_and_not1_saveexec_b32 s5, s5
	s_cbranch_execz .LBB6_4
; %bb.231:                              ;   in Loop: Header=BB6_6 Depth=1
	v_add_nc_u32_e32 v3, 1, v44
	global_store_b32 v[18:19], v3, off
	s_branch .LBB6_4
.LBB6_232:
	s_or_b32 exec_lo, exec_lo, s39
	s_and_saveexec_b32 s0, s2
	s_cbranch_execz .LBB6_234
.LBB6_233:
	v_mov_b32_e32 v3, 0
	s_lshl_b64 s[2:3], s[34:35], 2
	s_delay_alu instid0(SALU_CYCLE_1)
	s_add_nc_u64 s[4:5], s[12:13], s[2:3]
	s_add_nc_u64 s[2:3], s[10:11], s[2:3]
	ds_load_b32 v5, v3 offset:2052
	global_store_b32 v3, v2, s[4:5]
	s_wait_dscnt 0x0
	global_store_b32 v3, v5, s[2:3]
.LBB6_234:
	s_wait_xcnt 0x0
	s_or_b32 exec_lo, exec_lo, s0
	s_delay_alu instid0(SALU_CYCLE_1)
	s_mov_b32 s1, exec_lo
	v_cmpx_gt_i32_e64 s20, v2
	s_cbranch_execz .LBB6_255
; %bb.235:
	v_dual_ashrrev_i32 v3, 31, v2 :: v_dual_mov_b32 v5, 0
	s_add_nc_u64 s[2:3], s[28:29], s[26:27]
	v_mov_b32_e32 v10, v2
	s_ashr_i32 s5, s20, 31
	s_delay_alu instid0(VALU_DEP_2)
	v_lshlrev_b64_e32 v[6:7], 3, v[2:3]
	s_mov_b32 s4, s20
	s_ashr_i32 s7, s19, 31
	s_mov_b32 s6, s19
	s_mov_b32 s10, 0
	s_lshl_b64 s[4:5], s[4:5], 3
	s_lshl_b64 s[6:7], s[6:7], 3
	v_add_nc_u64_e32 v[8:9], s[2:3], v[6:7]
	s_add_nc_u64 s[2:3], s[24:25], s[30:31]
	v_cmp_ne_u32_e32 vcc_lo, 0, v2
	v_add_nc_u64_e32 v[6:7], s[2:3], v[6:7]
	s_ashr_i32 s3, s21, 31
	s_mov_b32 s2, s21
	s_delay_alu instid0(SALU_CYCLE_1) | instskip(SKIP_1) | instid1(VALU_DEP_2)
	s_lshl_b64 s[2:3], s[2:3], 3
	v_add_nc_u64_e32 v[8:9], v[8:9], v[4:5]
	v_add_nc_u64_e32 v[6:7], 4, v[6:7]
	s_delay_alu instid0(VALU_DEP_2)
	v_add_nc_u64_e32 v[8:9], s[14:15], v[8:9]
	s_branch .LBB6_237
.LBB6_236:                              ;   in Loop: Header=BB6_237 Depth=1
	s_or_b32 exec_lo, exec_lo, s11
	v_add_nc_u32_e32 v10, s21, v10
	v_add_nc_u64_e32 v[6:7], s[2:3], v[6:7]
	v_add_nc_u64_e32 v[8:9], s[2:3], v[8:9]
	s_delay_alu instid0(VALU_DEP_3) | instskip(SKIP_1) | instid1(SALU_CYCLE_1)
	v_cmp_le_i32_e64 s0, s20, v10
	s_or_b32 s10, s0, s10
	s_and_not1_b32 exec_lo, exec_lo, s10
	s_cbranch_execz .LBB6_255
.LBB6_237:                              ; =>This Loop Header: Depth=1
                                        ;     Child Loop BB6_240 Depth 2
                                        ;       Child Loop BB6_243 Depth 3
                                        ;         Child Loop BB6_245 Depth 4
                                        ;     Child Loop BB6_251 Depth 2
                                        ;       Child Loop BB6_253 Depth 3
	v_sub_nc_u32_e32 v3, s20, v10
	s_mov_b32 s11, exec_lo
	s_delay_alu instid0(VALU_DEP_1) | instskip(NEXT) | instid1(VALU_DEP_1)
	v_min_i32_e32 v11, s21, v3
	v_add_nc_u32_e32 v12, v11, v10
	v_cmpx_lt_i32_e32 0, v11
	s_cbranch_execz .LBB6_247
; %bb.238:                              ;   in Loop: Header=BB6_237 Depth=1
	v_mov_b64_e32 v[14:15], v[8:9]
	v_mov_b64_e32 v[16:17], v[6:7]
	v_mov_b32_e32 v18, v10
	s_mov_b32 s12, 0
	s_branch .LBB6_240
.LBB6_239:                              ;   in Loop: Header=BB6_240 Depth=2
	s_or_b32 exec_lo, exec_lo, s13
	v_add_nc_u32_e32 v18, 1, v18
	v_add_nc_u64_e32 v[16:17], 8, v[16:17]
	v_add_nc_u64_e32 v[14:15], 8, v[14:15]
	s_delay_alu instid0(VALU_DEP_3) | instskip(SKIP_1) | instid1(SALU_CYCLE_1)
	v_cmp_ge_i32_e64 s0, v18, v12
	s_or_b32 s12, s0, s12
	s_and_not1_b32 exec_lo, exec_lo, s12
	s_cbranch_execz .LBB6_247
.LBB6_240:                              ;   Parent Loop BB6_237 Depth=1
                                        ; =>  This Loop Header: Depth=2
                                        ;       Child Loop BB6_243 Depth 3
                                        ;         Child Loop BB6_245 Depth 4
	s_delay_alu instid0(VALU_DEP_1) | instskip(SKIP_1) | instid1(VALU_DEP_1)
	v_sub_nc_u32_e32 v13, v12, v18
	s_mov_b32 s13, exec_lo
	v_cmpx_lt_i32_e64 v0, v13
	s_cbranch_execz .LBB6_239
; %bb.241:                              ;   in Loop: Header=BB6_240 Depth=2
	v_mul_lo_u32 v22, v18, s19
	v_dual_mov_b32 v4, v0 :: v_dual_ashrrev_i32 v19, 31, v18
	v_mov_b64_e32 v[20:21], v[14:15]
	s_mov_b32 s14, 0
	s_delay_alu instid0(VALU_DEP_2) | instskip(NEXT) | instid1(VALU_DEP_4)
	v_lshl_add_u64 v[24:25], v[18:19], 3, s[8:9]
	v_ashrrev_i32_e32 v23, 31, v22
	s_delay_alu instid0(VALU_DEP_1)
	v_lshl_add_u64 v[22:23], v[22:23], 3, v[24:25]
	s_branch .LBB6_243
.LBB6_242:                              ;   in Loop: Header=BB6_243 Depth=3
	s_or_b32 exec_lo, exec_lo, s15
	v_lshl_add_u64 v[26:27], v[4:5], 3, v[22:23]
	v_dual_mul_f32 v31, 0, v19 :: v_dual_mov_b32 v32, v25
	v_xor_b32_e32 v34, 0x80000000, v19
	v_add_nc_u64_e32 v[20:21], 0x800, v[20:21]
	global_load_b64 v[28:29], v[26:27], off
	s_wait_loadcnt 0x0
	v_dual_mov_b32 v33, v28 :: v_dual_mul_f32 v24, 0, v29
	v_dual_mov_b32 v30, v28 :: v_dual_mov_b32 v35, v29
	s_delay_alu instid0(VALU_DEP_2) | instskip(SKIP_1) | instid1(VALU_DEP_3)
	v_pk_fma_f32 v[28:29], v[32:33], 0, v[28:29] op_sel_hi:[1,0,1]
	v_add_nc_u32_e32 v4, 0x100, v4
	v_pk_add_f32 v[24:25], v[30:31], v[24:25] neg_lo:[0,1] neg_hi:[0,1]
	s_delay_alu instid0(VALU_DEP_4) | instskip(NEXT) | instid1(VALU_DEP_4)
	v_pk_fma_f32 v[30:31], v[32:33], 0, v[34:35] op_sel_hi:[1,0,1] neg_lo:[1,0,0] neg_hi:[1,0,0]
	v_mov_b32_e32 v31, v29
	s_delay_alu instid0(VALU_DEP_4) | instskip(NEXT) | instid1(VALU_DEP_2)
	v_cmp_ge_i32_e64 s0, v4, v13
	v_pk_add_f32 v[24:25], v[30:31], v[24:25]
	s_or_b32 s14, s0, s14
	global_store_b64 v[26:27], v[24:25], off
	s_wait_xcnt 0x0
	s_and_not1_b32 exec_lo, exec_lo, s14
	s_cbranch_execz .LBB6_239
.LBB6_243:                              ;   Parent Loop BB6_237 Depth=1
                                        ;     Parent Loop BB6_240 Depth=2
                                        ; =>    This Loop Header: Depth=3
                                        ;         Child Loop BB6_245 Depth 4
	v_dual_mov_b32 v25, 0 :: v_dual_mov_b32 v19, 0
	s_and_saveexec_b32 s15, vcc_lo
	s_cbranch_execz .LBB6_242
; %bb.244:                              ;   in Loop: Header=BB6_243 Depth=3
	v_mov_b64_e32 v[26:27], v[20:21]
	v_mov_b64_e32 v[28:29], v[16:17]
	v_dual_mov_b32 v25, 0 :: v_dual_mov_b32 v24, v2
	v_mov_b32_e32 v19, 0
	s_mov_b32 s18, 0
.LBB6_245:                              ;   Parent Loop BB6_237 Depth=1
                                        ;     Parent Loop BB6_240 Depth=2
                                        ;       Parent Loop BB6_243 Depth=3
                                        ; =>      This Inner Loop Header: Depth=4
	global_load_b64 v[30:31], v[26:27], off
	global_load_b64 v[32:33], v[28:29], off offset:-4
	s_wait_xcnt 0x0
	v_add_nc_u64_e32 v[28:29], s[4:5], v[28:29]
	v_add_nc_u64_e32 v[26:27], s[6:7], v[26:27]
	s_wait_loadcnt 0x0
	v_dual_mul_f32 v34, v33, v31 :: v_dual_mul_f32 v31, v32, v31
	s_delay_alu instid0(VALU_DEP_1) | instskip(NEXT) | instid1(VALU_DEP_2)
	v_dual_add_nc_u32 v24, -1, v24 :: v_dual_fma_f32 v32, v32, v30, -v34
	v_fmac_f32_e32 v31, v33, v30
	s_delay_alu instid0(VALU_DEP_2) | instskip(NEXT) | instid1(VALU_DEP_2)
	v_cmp_eq_u32_e64 s0, 0, v24
	v_dual_add_f32 v19, v19, v32 :: v_dual_add_f32 v25, v25, v31
	s_or_b32 s18, s0, s18
	s_delay_alu instid0(SALU_CYCLE_1)
	s_and_not1_b32 exec_lo, exec_lo, s18
	s_cbranch_execnz .LBB6_245
; %bb.246:                              ;   in Loop: Header=BB6_243 Depth=3
	s_or_b32 exec_lo, exec_lo, s18
	s_branch .LBB6_242
.LBB6_247:                              ;   in Loop: Header=BB6_237 Depth=1
	s_or_b32 exec_lo, exec_lo, s11
	s_delay_alu instid0(SALU_CYCLE_1)
	s_mov_b32 s11, exec_lo
	v_cmpx_gt_i32_e64 s20, v12
	s_cbranch_execz .LBB6_236
; %bb.248:                              ;   in Loop: Header=BB6_237 Depth=1
	v_sub_nc_u32_e32 v3, v3, v11
	s_delay_alu instid0(VALU_DEP_1) | instskip(NEXT) | instid1(VALU_DEP_1)
	v_mul_lo_u32 v26, v3, v11
	v_cmp_lt_i32_e64 s0, v0, v26
	s_and_b32 exec_lo, exec_lo, s0
	s_cbranch_execz .LBB6_236
; %bb.249:                              ;   in Loop: Header=BB6_237 Depth=1
	v_dual_sub_nc_u32 v4, 0, v3 :: v_dual_ashrrev_i32 v13, 31, v12
	v_mul_lo_u32 v18, v10, s19
	s_mov_b32 s12, 0
	s_delay_alu instid0(VALU_DEP_2) | instskip(NEXT) | instid1(VALU_DEP_3)
	v_dual_ashrrev_i32 v28, 31, v3 :: v_dual_max_i32 v27, v3, v4
	v_lshl_add_u64 v[12:13], v[12:13], 3, s[8:9]
	s_delay_alu instid0(VALU_DEP_2) | instskip(NEXT) | instid1(VALU_DEP_4)
	v_cvt_f32_u32_e32 v4, v27
	v_ashrrev_i32_e32 v19, 31, v18
	s_delay_alu instid0(VALU_DEP_2) | instskip(NEXT) | instid1(VALU_DEP_1)
	v_rcp_iflag_f32_e32 v4, v4
	v_lshl_add_u64 v[18:19], v[18:19], 3, v[12:13]
	s_delay_alu instid0(TRANS32_DEP_1) | instskip(NEXT) | instid1(VALU_DEP_1)
	v_dual_mul_f32 v4, 0x4f7ffffe, v4 :: v_dual_sub_nc_u32 v11, 0, v27
	v_cvt_u32_f32_e32 v4, v4
	s_delay_alu instid0(VALU_DEP_1) | instskip(NEXT) | instid1(VALU_DEP_1)
	v_mul_lo_u32 v11, v11, v4
	v_mul_hi_u32 v14, v4, v11
	v_dual_ashrrev_i32 v11, 31, v10 :: v_dual_mov_b32 v15, v5
	s_delay_alu instid0(VALU_DEP_1) | instskip(NEXT) | instid1(VALU_DEP_3)
	v_lshl_add_u64 v[16:17], v[10:11], 3, s[22:23]
	v_add_nc_u32_e32 v14, v4, v14
	v_mov_b32_e32 v4, v0
	s_branch .LBB6_251
.LBB6_250:                              ;   in Loop: Header=BB6_251 Depth=2
	s_or_b32 exec_lo, exec_lo, s13
	s_delay_alu instid0(VALU_DEP_1) | instskip(SKIP_2) | instid1(VALU_DEP_1)
	v_mad_u32 v22, v20, s19, v29
	v_xor_b32_e32 v34, 0x80000000, v11
	v_dual_mul_f32 v31, 0, v11 :: v_dual_add_nc_u32 v4, 0x100, v4
	v_cmp_ge_i32_e64 s0, v4, v26
	s_delay_alu instid0(VALU_DEP_4) | instskip(SKIP_1) | instid1(VALU_DEP_1)
	v_ashrrev_i32_e32 v23, 31, v22
	s_or_b32 s12, s0, s12
	v_lshl_add_u64 v[22:23], v[22:23], 3, v[18:19]
	global_load_b64 v[24:25], v[22:23], off
	s_wait_loadcnt 0x0
	v_dual_mov_b32 v32, v21 :: v_dual_mov_b32 v33, v24
	v_dual_mul_f32 v20, 0, v25 :: v_dual_mov_b32 v30, v24
	v_mov_b32_e32 v35, v25
	s_delay_alu instid0(VALU_DEP_3) | instskip(NEXT) | instid1(VALU_DEP_3)
	v_pk_fma_f32 v[24:25], v[32:33], 0, v[24:25] op_sel_hi:[1,0,1]
	v_pk_add_f32 v[20:21], v[30:31], v[20:21] neg_lo:[0,1] neg_hi:[0,1]
	s_delay_alu instid0(VALU_DEP_3) | instskip(NEXT) | instid1(VALU_DEP_3)
	v_pk_fma_f32 v[30:31], v[32:33], 0, v[34:35] op_sel_hi:[1,0,1] neg_lo:[1,0,0] neg_hi:[1,0,0]
	v_mov_b32_e32 v31, v25
	s_delay_alu instid0(VALU_DEP_1)
	v_pk_add_f32 v[20:21], v[30:31], v[20:21]
	global_store_b64 v[22:23], v[20:21], off
	s_wait_xcnt 0x0
	s_and_not1_b32 exec_lo, exec_lo, s12
	s_cbranch_execz .LBB6_236
.LBB6_251:                              ;   Parent Loop BB6_237 Depth=1
                                        ; =>  This Loop Header: Depth=2
                                        ;       Child Loop BB6_253 Depth 3
	s_delay_alu instid0(VALU_DEP_1) | instskip(NEXT) | instid1(VALU_DEP_1)
	v_mul_u64_e32 v[20:21], v[4:5], v[14:15]
	v_mul_lo_u32 v11, v21, v27
	s_delay_alu instid0(VALU_DEP_1) | instskip(NEXT) | instid1(VALU_DEP_1)
	v_dual_add_nc_u32 v20, 1, v21 :: v_dual_sub_nc_u32 v11, v4, v11
	v_cmp_ge_u32_e64 s0, v11, v27
	s_delay_alu instid0(VALU_DEP_1) | instskip(NEXT) | instid1(VALU_DEP_1)
	v_dual_sub_nc_u32 v22, v11, v27 :: v_dual_cndmask_b32 v20, v21, v20, s0
	v_dual_cndmask_b32 v11, v11, v22, s0 :: v_dual_add_nc_u32 v21, 1, v20
	s_delay_alu instid0(VALU_DEP_1) | instskip(NEXT) | instid1(VALU_DEP_1)
	v_cmp_ge_u32_e64 s0, v11, v27
	v_dual_cndmask_b32 v11, v20, v21, s0 :: v_dual_mov_b32 v21, 0
	s_delay_alu instid0(VALU_DEP_1) | instskip(NEXT) | instid1(VALU_DEP_1)
	v_xor_b32_e32 v11, v11, v28
	v_sub_nc_u32_e32 v20, v11, v28
	s_delay_alu instid0(VALU_DEP_1) | instskip(NEXT) | instid1(VALU_DEP_1)
	v_mul_lo_u32 v11, v20, v3
	v_dual_sub_nc_u32 v29, v4, v11 :: v_dual_mov_b32 v11, 0
	s_and_saveexec_b32 s13, vcc_lo
	s_cbranch_execz .LBB6_250
; %bb.252:                              ;   in Loop: Header=BB6_251 Depth=2
	s_delay_alu instid0(VALU_DEP_1)
	v_dual_mov_b32 v21, 0 :: v_dual_mov_b32 v22, v29
	v_dual_mov_b32 v24, v20 :: v_dual_mov_b32 v30, v2
	v_mov_b32_e32 v11, 0
	s_mov_b32 s14, 0
.LBB6_253:                              ;   Parent Loop BB6_237 Depth=1
                                        ;     Parent Loop BB6_251 Depth=2
                                        ; =>    This Inner Loop Header: Depth=3
	s_delay_alu instid0(VALU_DEP_2) | instskip(NEXT) | instid1(VALU_DEP_1)
	v_dual_ashrrev_i32 v23, 31, v22 :: v_dual_ashrrev_i32 v25, 31, v24
	v_lshl_add_u64 v[32:33], v[22:23], 3, v[12:13]
	s_delay_alu instid0(VALU_DEP_2)
	v_lshl_add_u64 v[34:35], v[24:25], 3, v[16:17]
	global_load_b64 v[36:37], v[32:33], off
	global_load_b64 v[38:39], v[34:35], off
	s_wait_loadcnt 0x0
	v_dual_mul_f32 v23, v39, v37 :: v_dual_add_nc_u32 v22, s19, v22
	v_dual_mul_f32 v25, v38, v37 :: v_dual_add_nc_u32 v30, -1, v30
	s_delay_alu instid0(VALU_DEP_1) | instskip(NEXT) | instid1(VALU_DEP_2)
	v_dual_fma_f32 v23, v38, v36, -v23 :: v_dual_fmac_f32 v25, v39, v36
	v_cmp_eq_u32_e64 s0, 0, v30
	s_delay_alu instid0(VALU_DEP_2) | instskip(NEXT) | instid1(VALU_DEP_3)
	v_dual_add_f32 v11, v11, v23 :: v_dual_add_nc_u32 v24, s20, v24
	v_add_f32_e32 v21, v21, v25
	s_or_b32 s14, s0, s14
	s_wait_xcnt 0x0
	s_and_not1_b32 exec_lo, exec_lo, s14
	s_cbranch_execnz .LBB6_253
; %bb.254:                              ;   in Loop: Header=BB6_251 Depth=2
	s_or_b32 exec_lo, exec_lo, s14
	s_branch .LBB6_250
.LBB6_255:
	s_or_b32 exec_lo, exec_lo, s1
	s_wait_storecnt_dscnt 0x0
	s_barrier_signal -1
	s_barrier_wait -1
	s_mov_b32 s0, exec_lo
	v_cmpx_lt_i32_e32 1, v2
	s_cbranch_execz .LBB6_263
; %bb.256:
	s_lshl_b32 s1, s19, 8
	s_mov_b32 s2, 0
	s_branch .LBB6_259
.LBB6_257:                              ;   in Loop: Header=BB6_259 Depth=1
	s_wait_storecnt 0x0
	s_barrier_signal -1
	s_barrier_wait -1
.LBB6_258:                              ;   in Loop: Header=BB6_259 Depth=1
	s_or_b32 exec_lo, exec_lo, s0
	v_cmp_gt_u32_e32 vcc_lo, 2, v6
	v_mov_b32_e32 v2, v6
	s_or_b32 s2, vcc_lo, s2
	s_delay_alu instid0(SALU_CYCLE_1)
	s_and_not1_b32 exec_lo, exec_lo, s2
	s_cbranch_execz .LBB6_263
.LBB6_259:                              ; =>This Loop Header: Depth=1
                                        ;     Child Loop BB6_262 Depth 2
	s_delay_alu instid0(VALU_DEP_1)
	v_dual_add_nc_u32 v3, -1, v2 :: v_dual_add_nc_u32 v5, -2, v2
	global_load_b32 v4, v3, s[16:17] scale_offset
	s_wait_loadcnt 0x0
	v_not_b32_e32 v6, v4
	v_cmp_gt_i32_e32 vcc_lo, 0, v4
	v_add_nc_u32_e32 v7, -1, v4
	s_delay_alu instid0(VALU_DEP_1) | instskip(SKIP_1) | instid1(VALU_DEP_2)
	v_cndmask_b32_e32 v7, v7, v6, vcc_lo
	v_cndmask_b32_e32 v6, v3, v5, vcc_lo
	v_cmp_ne_u32_e32 vcc_lo, v7, v3
	s_delay_alu instid0(VALU_DEP_2) | instskip(SKIP_1) | instid1(SALU_CYCLE_1)
	v_cmp_ne_u32_e64 s0, 0, v6
	s_and_b32 s3, vcc_lo, s0
	s_and_saveexec_b32 s0, s3
	s_cbranch_execz .LBB6_258
; %bb.260:                              ;   in Loop: Header=BB6_259 Depth=1
	v_cmp_lt_i32_e32 vcc_lo, v0, v6
	s_and_b32 exec_lo, exec_lo, vcc_lo
	s_cbranch_execz .LBB6_257
; %bb.261:                              ;   in Loop: Header=BB6_259 Depth=1
	v_dual_mov_b32 v4, v1 :: v_dual_ashrrev_i32 v3, 31, v2
	v_mov_b32_e32 v8, v0
	s_mov_b32 s3, 0
.LBB6_262:                              ;   Parent Loop BB6_259 Depth=1
                                        ; =>  This Inner Loop Header: Depth=2
	s_delay_alu instid0(VALU_DEP_2) | instskip(NEXT) | instid1(VALU_DEP_2)
	v_ashrrev_i32_e32 v5, 31, v4
	v_add_nc_u32_e32 v8, 0x100, v8
	s_delay_alu instid0(VALU_DEP_2) | instskip(SKIP_1) | instid1(VALU_DEP_3)
	v_add_nc_u64_e32 v[10:11], v[4:5], v[2:3]
	v_add_nc_u32_e32 v5, v7, v4
	v_cmp_ge_i32_e32 vcc_lo, v8, v6
	v_add_nc_u32_e32 v4, s1, v4
	s_or_b32 s3, vcc_lo, s3
	s_delay_alu instid0(VALU_DEP_4)
	v_lshl_add_u64 v[10:11], v[10:11], 3, s[8:9]
	s_clause 0x1
	global_load_b64 v[12:13], v5, s[8:9] scale_offset
	global_load_b64 v[14:15], v[10:11], off offset:-8
	s_wait_loadcnt 0x0
	s_clause 0x1
	global_store_b64 v5, v[14:15], s[8:9] scale_offset
	global_store_b64 v[10:11], v[12:13], off offset:-8
	s_wait_xcnt 0x0
	s_and_not1_b32 exec_lo, exec_lo, s3
	s_cbranch_execnz .LBB6_262
	s_branch .LBB6_257
.LBB6_263:
	s_endpgm
.LBB6_264:
	v_mov_b32_e32 v2, 0
	s_and_saveexec_b32 s0, s2
	s_cbranch_execnz .LBB6_233
	s_branch .LBB6_234
	.section	.rodata,"a",@progbits
	.p2align	6, 0x0
	.amdhsa_kernel _ZN9rocsolver6v33100L18lasyf_kernel_lowerI19rocblas_complex_numIfEPS3_EEviiPiT0_iilS5_lS5_PT_
		.amdhsa_group_segment_fixed_size 2068
		.amdhsa_private_segment_fixed_size 0
		.amdhsa_kernarg_size 72
		.amdhsa_user_sgpr_count 2
		.amdhsa_user_sgpr_dispatch_ptr 0
		.amdhsa_user_sgpr_queue_ptr 0
		.amdhsa_user_sgpr_kernarg_segment_ptr 1
		.amdhsa_user_sgpr_dispatch_id 0
		.amdhsa_user_sgpr_kernarg_preload_length 0
		.amdhsa_user_sgpr_kernarg_preload_offset 0
		.amdhsa_user_sgpr_private_segment_size 0
		.amdhsa_wavefront_size32 1
		.amdhsa_uses_dynamic_stack 0
		.amdhsa_enable_private_segment 0
		.amdhsa_system_sgpr_workgroup_id_x 1
		.amdhsa_system_sgpr_workgroup_id_y 1
		.amdhsa_system_sgpr_workgroup_id_z 0
		.amdhsa_system_sgpr_workgroup_info 0
		.amdhsa_system_vgpr_workitem_id 0
		.amdhsa_next_free_vgpr 54
		.amdhsa_next_free_sgpr 61
		.amdhsa_named_barrier_count 0
		.amdhsa_reserve_vcc 1
		.amdhsa_float_round_mode_32 0
		.amdhsa_float_round_mode_16_64 0
		.amdhsa_float_denorm_mode_32 3
		.amdhsa_float_denorm_mode_16_64 3
		.amdhsa_fp16_overflow 0
		.amdhsa_memory_ordered 1
		.amdhsa_forward_progress 1
		.amdhsa_inst_pref_size 96
		.amdhsa_round_robin_scheduling 0
		.amdhsa_exception_fp_ieee_invalid_op 0
		.amdhsa_exception_fp_denorm_src 0
		.amdhsa_exception_fp_ieee_div_zero 0
		.amdhsa_exception_fp_ieee_overflow 0
		.amdhsa_exception_fp_ieee_underflow 0
		.amdhsa_exception_fp_ieee_inexact 0
		.amdhsa_exception_int_div_zero 0
	.end_amdhsa_kernel
	.section	.text._ZN9rocsolver6v33100L18lasyf_kernel_lowerI19rocblas_complex_numIfEPS3_EEviiPiT0_iilS5_lS5_PT_,"axG",@progbits,_ZN9rocsolver6v33100L18lasyf_kernel_lowerI19rocblas_complex_numIfEPS3_EEviiPiT0_iilS5_lS5_PT_,comdat
.Lfunc_end6:
	.size	_ZN9rocsolver6v33100L18lasyf_kernel_lowerI19rocblas_complex_numIfEPS3_EEviiPiT0_iilS5_lS5_PT_, .Lfunc_end6-_ZN9rocsolver6v33100L18lasyf_kernel_lowerI19rocblas_complex_numIfEPS3_EEviiPiT0_iilS5_lS5_PT_
                                        ; -- End function
	.set _ZN9rocsolver6v33100L18lasyf_kernel_lowerI19rocblas_complex_numIfEPS3_EEviiPiT0_iilS5_lS5_PT_.num_vgpr, 54
	.set _ZN9rocsolver6v33100L18lasyf_kernel_lowerI19rocblas_complex_numIfEPS3_EEviiPiT0_iilS5_lS5_PT_.num_agpr, 0
	.set _ZN9rocsolver6v33100L18lasyf_kernel_lowerI19rocblas_complex_numIfEPS3_EEviiPiT0_iilS5_lS5_PT_.numbered_sgpr, 61
	.set _ZN9rocsolver6v33100L18lasyf_kernel_lowerI19rocblas_complex_numIfEPS3_EEviiPiT0_iilS5_lS5_PT_.num_named_barrier, 0
	.set _ZN9rocsolver6v33100L18lasyf_kernel_lowerI19rocblas_complex_numIfEPS3_EEviiPiT0_iilS5_lS5_PT_.private_seg_size, 0
	.set _ZN9rocsolver6v33100L18lasyf_kernel_lowerI19rocblas_complex_numIfEPS3_EEviiPiT0_iilS5_lS5_PT_.uses_vcc, 1
	.set _ZN9rocsolver6v33100L18lasyf_kernel_lowerI19rocblas_complex_numIfEPS3_EEviiPiT0_iilS5_lS5_PT_.uses_flat_scratch, 0
	.set _ZN9rocsolver6v33100L18lasyf_kernel_lowerI19rocblas_complex_numIfEPS3_EEviiPiT0_iilS5_lS5_PT_.has_dyn_sized_stack, 0
	.set _ZN9rocsolver6v33100L18lasyf_kernel_lowerI19rocblas_complex_numIfEPS3_EEviiPiT0_iilS5_lS5_PT_.has_recursion, 0
	.set _ZN9rocsolver6v33100L18lasyf_kernel_lowerI19rocblas_complex_numIfEPS3_EEviiPiT0_iilS5_lS5_PT_.has_indirect_call, 0
	.section	.AMDGPU.csdata,"",@progbits
; Kernel info:
; codeLenInByte = 12268
; TotalNumSgprs: 63
; NumVgprs: 54
; ScratchSize: 0
; MemoryBound: 0
; FloatMode: 240
; IeeeMode: 1
; LDSByteSize: 2068 bytes/workgroup (compile time only)
; SGPRBlocks: 0
; VGPRBlocks: 3
; NumSGPRsForWavesPerEU: 63
; NumVGPRsForWavesPerEU: 54
; NamedBarCnt: 0
; Occupancy: 16
; WaveLimiterHint : 1
; COMPUTE_PGM_RSRC2:SCRATCH_EN: 0
; COMPUTE_PGM_RSRC2:USER_SGPR: 2
; COMPUTE_PGM_RSRC2:TRAP_HANDLER: 0
; COMPUTE_PGM_RSRC2:TGID_X_EN: 1
; COMPUTE_PGM_RSRC2:TGID_Y_EN: 1
; COMPUTE_PGM_RSRC2:TGID_Z_EN: 0
; COMPUTE_PGM_RSRC2:TIDIG_COMP_CNT: 0
	.section	.text._ZN9rocsolver6v33100L18lasyf_kernel_upperI19rocblas_complex_numIdEPS3_EEviiPiT0_iilS5_lS5_PT_,"axG",@progbits,_ZN9rocsolver6v33100L18lasyf_kernel_upperI19rocblas_complex_numIdEPS3_EEviiPiT0_iilS5_lS5_PT_,comdat
	.globl	_ZN9rocsolver6v33100L18lasyf_kernel_upperI19rocblas_complex_numIdEPS3_EEviiPiT0_iilS5_lS5_PT_ ; -- Begin function _ZN9rocsolver6v33100L18lasyf_kernel_upperI19rocblas_complex_numIdEPS3_EEviiPiT0_iilS5_lS5_PT_
	.p2align	8
	.type	_ZN9rocsolver6v33100L18lasyf_kernel_upperI19rocblas_complex_numIdEPS3_EEviiPiT0_iilS5_lS5_PT_,@function
_ZN9rocsolver6v33100L18lasyf_kernel_upperI19rocblas_complex_numIdEPS3_EEviiPiT0_iilS5_lS5_PT_: ; @_ZN9rocsolver6v33100L18lasyf_kernel_upperI19rocblas_complex_numIdEPS3_EEviiPiT0_iilS5_lS5_PT_
; %bb.0:
	v_and_b32_e32 v26, 0x3ff, v0
	s_delay_alu instid0(VALU_DEP_1)
	v_cmp_eq_u32_e64 s4, 0, v26
	s_and_saveexec_b32 s5, s4
; %bb.1:
	v_mov_b32_e32 v1, 0
	ds_store_b32 v1, v1 offset:3100
; %bb.2:
	s_or_b32 exec_lo, exec_lo, s5
	s_load_b64 s[6:7], s[0:1], 0x4
	s_clause 0x4
	s_load_b64 s[20:21], s[2:3], 0x18
	s_load_b64 s[22:23], s[2:3], 0x0
	s_load_b128 s[16:19], s[2:3], 0x8
	s_load_b256 s[8:15], s[2:3], 0x20
	s_load_b64 s[24:25], s[2:3], 0x40
	s_wait_xcnt 0x0
	s_bfe_u32 s0, ttmp6, 0x40010
	s_bfe_u32 s1, ttmp6, 0x40004
	s_add_co_i32 s0, s0, 1
	s_getreg_b32 s2, hwreg(HW_REG_IB_STS2, 6, 4)
	s_mul_i32 s0, ttmp7, s0
	v_bfe_u32 v1, v0, 10, 10
	s_add_co_i32 s3, s1, s0
	v_bfe_u32 v0, v0, 20, 10
	v_dual_lshlrev_b32 v8, 4, v26 :: v_dual_add_nc_u32 v27, 1, v26
	s_wait_kmcnt 0x0
	s_lshr_b32 s5, s6, 16
	s_ashr_i32 s1, s20, 31
	s_mul_i32 s5, s5, s7
	s_cmp_eq_u32 s2, 0
	v_mul_lo_u32 v2, s5, v26
	s_cselect_b32 s30, ttmp7, s3
	v_mul_u32_u24_e32 v1, s7, v1
	s_mov_b32 s0, s20
	s_ashr_i32 s31, s30, 31
	s_lshl_b64 s[26:27], s[0:1], 4
	s_mul_i32 s2, s22, s30
	s_mul_u64 s[0:1], s[8:9], s[30:31]
	s_mul_i32 s28, s2, s23
	s_mul_u64 s[2:3], s[12:13], s[30:31]
	s_lshl_b64 s[12:13], s[0:1], 4
	v_add3_u32 v28, v2, v1, v0
	s_add_co_i32 s20, s22, -1
	s_lshl_b64 s[0:1], s[2:3], 2
	s_add_nc_u64 s[2:3], s[18:19], s[12:13]
	s_ashr_i32 s29, s28, 31
	s_add_nc_u64 s[8:9], s[10:11], s[0:1]
	s_add_nc_u64 s[10:11], s[2:3], s[26:27]
	s_cmp_lt_i32 s20, 0
	s_mov_b32 s1, s23
	s_mov_b32 s34, s20
	s_cbranch_scc1 .LBB7_235
; %bb.3:
	s_lshl_b64 s[0:1], s[28:29], 4
	v_dual_mov_b32 v9, 0 :: v_dual_lshlrev_b32 v0, 4, v28
	s_add_nc_u64 s[36:37], s[24:25], s[0:1]
	s_add_nc_u64 s[0:1], s[12:13], s[26:27]
	v_dual_lshlrev_b32 v31, 3, v26 :: v_dual_add_nc_u32 v2, s23, v26
	s_add_nc_u64 s[38:39], s[18:19], s[0:1]
	v_add_nc_u32_e32 v29, 0x1c20, v0
	v_add_nc_u32_e32 v30, 0xc20, v0
	v_add_nc_u64_e32 v[0:1], s[38:39], v[8:9]
	v_subrev_nc_u32_e32 v2, s22, v2
	s_sub_co_i32 s33, s23, s22
	s_add_co_i32 s61, s23, -1
	s_sub_co_i32 s54, s22, s23
	s_cmp_eq_u32 s23, s22
	s_mov_b32 s6, s21
	v_add_nc_u64_e32 v[10:11], 8, v[0:1]
	v_add_nc_u64_e32 v[0:1], s[36:37], v[8:9]
	s_cselect_b32 s3, -1, 0
	s_ashr_i32 s7, s21, 31
	v_lshl_add_u32 v32, v26, 2, 0x800
	v_cmp_gt_u32_e64 s0, 0x80, v26
	v_cmp_gt_u32_e64 s1, 64, v26
	;; [unrolled: 1-line block ×3, first 2 shown]
	v_add_nc_u64_e32 v[12:13], 8, v[0:1]
	v_add_nc_u64_e32 v[14:15], 16, v[0:1]
	v_add_nc_u32_e32 v33, 1, v2
	s_lshl_b64 s[40:41], s[6:7], 4
	s_ashr_i32 s7, s22, 31
	s_mov_b32 s6, s22
	s_add_co_i32 s55, s21, 1
	s_lshl_b32 s56, s22, 1
	s_add_nc_u64 s[42:43], s[36:37], 8
	s_lshl_b64 s[44:45], s[6:7], 4
	s_lshl_b32 s57, s21, 8
	s_lshl_b32 s58, s22, 8
	s_add_nc_u64 s[46:47], s[38:39], 8
	s_mov_b32 s59, 0
	s_xor_b32 s60, s3, -1
	s_mov_b32 s34, s20
	s_branch .LBB7_6
.LBB7_4:                                ;   in Loop: Header=BB7_6 Depth=1
	s_wait_xcnt 0x0
	s_or_b32 exec_lo, exec_lo, s3
	s_add_co_i32 s34, s49, s34
	s_delay_alu instid0(SALU_CYCLE_1)
	s_add_co_i32 s61, s34, s33
	s_cmp_lt_i32 s34, 0
	s_cselect_b32 s3, -1, 0
.LBB7_5:                                ;   in Loop: Header=BB7_6 Depth=1
	s_delay_alu instid0(SALU_CYCLE_1)
	s_and_b32 vcc_lo, exec_lo, s3
	s_cbranch_vccnz .LBB7_234
.LBB7_6:                                ; =>This Loop Header: Depth=1
                                        ;     Child Loop BB7_9 Depth 2
                                        ;     Child Loop BB7_16 Depth 2
                                        ;       Child Loop BB7_18 Depth 3
                                        ;     Child Loop BB7_22 Depth 2
                                        ;     Child Loop BB7_67 Depth 2
	;; [unrolled: 1-line block ×4, first 2 shown]
                                        ;       Child Loop BB7_79 Depth 3
                                        ;     Child Loop BB7_84 Depth 2
                                        ;     Child Loop BB7_128 Depth 2
	;; [unrolled: 1-line block ×9, first 2 shown]
	s_cmp_le_i32 s34, s54
	s_cselect_b32 s3, -1, 0
	s_delay_alu instid0(SALU_CYCLE_1) | instskip(NEXT) | instid1(SALU_CYCLE_1)
	s_and_b32 s3, s60, s3
	s_and_b32 vcc_lo, exec_lo, s3
	s_mov_b32 s3, -1
	s_cbranch_vccnz .LBB7_5
; %bb.7:                                ;   in Loop: Header=BB7_6 Depth=1
	v_cmp_ge_i32_e64 s5, s34, v26
	s_and_saveexec_b32 s3, s5
	s_cbranch_execz .LBB7_10
; %bb.8:                                ;   in Loop: Header=BB7_6 Depth=1
	v_mad_u32 v0, s61, s22, v26
	v_mad_u32 v2, s34, s21, v26
	v_mov_b32_e32 v4, v26
	s_mov_b32 s6, 0
	s_delay_alu instid0(VALU_DEP_2) | instskip(NEXT) | instid1(VALU_DEP_1)
	v_dual_ashrrev_i32 v1, 31, v0 :: v_dual_ashrrev_i32 v3, 31, v2
	v_lshl_add_u64 v[0:1], v[0:1], 4, s[36:37]
	s_delay_alu instid0(VALU_DEP_2)
	v_lshl_add_u64 v[2:3], v[2:3], 4, s[38:39]
.LBB7_9:                                ;   Parent Loop BB7_6 Depth=1
                                        ; =>  This Inner Loop Header: Depth=2
	global_load_b128 v[16:19], v[2:3], off
	v_add_nc_u32_e32 v4, 0x100, v4
	s_wait_xcnt 0x0
	v_add_nc_u64_e32 v[2:3], 0x1000, v[2:3]
	s_delay_alu instid0(VALU_DEP_2)
	v_cmp_lt_i32_e32 vcc_lo, s34, v4
	s_or_b32 s6, vcc_lo, s6
	s_wait_loadcnt 0x0
	global_store_b128 v[0:1], v[16:19], off
	s_wait_xcnt 0x0
	v_add_nc_u64_e32 v[0:1], 0x1000, v[0:1]
	s_and_not1_b32 exec_lo, exec_lo, s6
	s_cbranch_execnz .LBB7_9
.LBB7_10:                               ;   in Loop: Header=BB7_6 Depth=1
	s_or_b32 exec_lo, exec_lo, s3
	s_cmp_ge_i32 s34, s20
	s_mov_b32 s3, -1
	s_cselect_b32 s62, -1, 0
	s_cmp_lt_i32 s34, s20
	s_wait_storecnt_dscnt 0x0
	s_barrier_signal -1
	s_barrier_wait -1
                                        ; implicit-def: $sgpr48
	s_cbranch_scc1 .LBB7_12
; %bb.11:                               ;   in Loop: Header=BB7_6 Depth=1
	s_mul_i32 s48, s61, s22
	s_mov_b32 s3, 0
	s_ashr_i32 s49, s48, 31
.LBB7_12:                               ;   in Loop: Header=BB7_6 Depth=1
	s_and_not1_b32 vcc_lo, exec_lo, s3
	s_cbranch_vccnz .LBB7_20
; %bb.13:                               ;   in Loop: Header=BB7_6 Depth=1
	s_mul_i32 s48, s61, s22
	s_delay_alu instid0(SALU_CYCLE_1)
	s_ashr_i32 s49, s48, 31
	s_and_saveexec_b32 s3, s5
	s_cbranch_execz .LBB7_19
; %bb.14:                               ;   in Loop: Header=BB7_6 Depth=1
	s_not_b32 s6, s34
	s_add_co_i32 s7, s34, 1
	s_add_co_i32 s63, s22, s6
	;; [unrolled: 1-line block ×3, first 2 shown]
	s_mul_i32 s50, s7, s21
	s_mul_i32 s52, s6, s22
	s_ashr_i32 s51, s50, 31
	s_ashr_i32 s53, s52, 31
	s_lshl_b64 s[6:7], s[48:49], 4
	s_mov_b32 s35, s59
	s_cmp_gt_i32 s63, 0
	v_lshl_add_u64 v[0:1], s[50:51], 4, v[10:11]
	s_cselect_b32 s64, -1, 0
	s_lshl_b64 s[50:51], s[52:53], 4
	s_lshl_b64 s[52:53], s[34:35], 4
	v_mov_b32_e32 v16, v26
	s_add_nc_u64 s[50:51], s[50:51], s[52:53]
	s_add_nc_u64 s[6:7], s[36:37], s[6:7]
	s_mov_b32 s35, 0
	s_add_nc_u64 s[50:51], s[42:43], s[50:51]
	s_branch .LBB7_16
.LBB7_15:                               ;   in Loop: Header=BB7_16 Depth=2
	global_load_b128 v[18:21], v16, s[6:7] scale_offset
	v_fma_f64 v[6:7], 0x80000000, v[2:3], -v[4:5]
	v_fma_f64 v[4:5], v[4:5], 0, -v[2:3]
	v_add_nc_u64_e32 v[0:1], 0x1000, v[0:1]
	s_wait_loadcnt 0x0
	v_fmamk_f64 v[2:3], v[20:21], 0x80000000, v[18:19]
	v_fmac_f64_e32 v[20:21], 0, v[18:19]
	s_delay_alu instid0(VALU_DEP_2) | instskip(NEXT) | instid1(VALU_DEP_2)
	v_add_f64_e32 v[2:3], v[6:7], v[2:3]
	v_add_f64_e32 v[4:5], v[4:5], v[20:21]
	global_store_b128 v16, v[2:5], s[6:7] scale_offset
	s_wait_xcnt 0x0
	v_add_nc_u32_e32 v16, 0x100, v16
	s_delay_alu instid0(VALU_DEP_1) | instskip(SKIP_1) | instid1(SALU_CYCLE_1)
	v_cmp_lt_i32_e32 vcc_lo, s34, v16
	s_or_b32 s35, vcc_lo, s35
	s_and_not1_b32 exec_lo, exec_lo, s35
	s_cbranch_execz .LBB7_19
.LBB7_16:                               ;   Parent Loop BB7_6 Depth=1
                                        ; =>  This Loop Header: Depth=2
                                        ;       Child Loop BB7_18 Depth 3
	v_mov_b64_e32 v[2:3], 0
	v_mov_b64_e32 v[4:5], 0
	s_and_not1_b32 vcc_lo, exec_lo, s64
	s_cbranch_vccnz .LBB7_15
; %bb.17:                               ;   in Loop: Header=BB7_16 Depth=2
	v_mov_b64_e32 v[6:7], v[0:1]
	s_mov_b64 s[52:53], s[50:51]
	s_mov_b32 s65, s63
.LBB7_18:                               ;   Parent Loop BB7_6 Depth=1
                                        ;     Parent Loop BB7_16 Depth=2
                                        ; =>    This Inner Loop Header: Depth=3
	global_load_b128 v[18:21], v9, s[52:53] offset:-8
	global_load_b128 v[22:25], v[6:7], off offset:-8
	s_wait_xcnt 0x0
	v_add_nc_u64_e32 v[6:7], s[40:41], v[6:7]
	s_add_co_i32 s65, s65, -1
	s_add_nc_u64 s[52:53], s[52:53], s[44:45]
	s_cmp_eq_u32 s65, 0
	s_wait_loadcnt 0x0
	v_mul_f64_e32 v[34:35], v[20:21], v[24:25]
	v_mul_f64_e32 v[24:25], v[18:19], v[24:25]
	s_delay_alu instid0(VALU_DEP_2) | instskip(NEXT) | instid1(VALU_DEP_2)
	v_fma_f64 v[18:19], v[18:19], v[22:23], -v[34:35]
	v_fmac_f64_e32 v[24:25], v[20:21], v[22:23]
	s_delay_alu instid0(VALU_DEP_2) | instskip(NEXT) | instid1(VALU_DEP_2)
	v_add_f64_e32 v[4:5], v[4:5], v[18:19]
	v_add_f64_e32 v[2:3], v[2:3], v[24:25]
	s_cbranch_scc0 .LBB7_18
	s_branch .LBB7_15
.LBB7_19:                               ;   in Loop: Header=BB7_6 Depth=1
	s_or_b32 exec_lo, exec_lo, s3
	s_wait_storecnt 0x0
	s_barrier_signal -1
	s_barrier_wait -1
.LBB7_20:                               ;   in Loop: Header=BB7_6 Depth=1
	v_mov_b64_e32 v[0:1], 0
	v_cmp_gt_i32_e64 s3, s34, v26
	v_bfrev_b32_e32 v4, -2
	s_and_saveexec_b32 s35, s3
	s_cbranch_execz .LBB7_24
; %bb.21:                               ;   in Loop: Header=BB7_6 Depth=1
	v_mov_b64_e32 v[0:1], 0
	v_lshl_add_u64 v[2:3], s[48:49], 4, v[12:13]
	v_bfrev_b32_e32 v4, -2
	v_mov_b32_e32 v5, v26
	s_mov_b32 s49, 0
.LBB7_22:                               ;   Parent Loop BB7_6 Depth=1
                                        ; =>  This Inner Loop Header: Depth=2
	global_load_b128 v[16:19], v[2:3], off offset:-8
	s_wait_xcnt 0x0
	v_add_nc_u64_e32 v[2:3], 0x1000, v[2:3]
	s_wait_loadcnt 0x0
	v_cmp_gt_f64_e32 vcc_lo, 0, v[18:19]
	v_cmp_gt_f64_e64 s6, 0, v[16:17]
	v_xor_b32_e32 v6, 0x80000000, v17
	v_xor_b32_e32 v7, 0x80000000, v19
	s_delay_alu instid0(VALU_DEP_1) | instskip(SKIP_1) | instid1(VALU_DEP_2)
	v_dual_cndmask_b32 v19, v19, v7, vcc_lo :: v_dual_cndmask_b32 v17, v17, v6, s6
	v_cmp_eq_u32_e64 s6, 0x7fffffff, v4
	v_dual_add_f64 v[6:7], v[16:17], v[18:19] :: v_dual_add_nc_u32 v16, 1, v5
	s_delay_alu instid0(VALU_DEP_1) | instskip(SKIP_1) | instid1(VALU_DEP_2)
	v_cmp_lt_f64_e32 vcc_lo, v[0:1], v[6:7]
	s_or_b32 vcc_lo, vcc_lo, s6
	v_dual_cndmask_b32 v4, v4, v16 :: v_dual_add_nc_u32 v5, 0x100, v5
	v_dual_cndmask_b32 v1, v1, v7 :: v_dual_cndmask_b32 v0, v0, v6
	s_delay_alu instid0(VALU_DEP_2) | instskip(SKIP_1) | instid1(SALU_CYCLE_1)
	v_cmp_le_i32_e64 s7, s34, v5
	s_or_b32 s49, s7, s49
	s_and_not1_b32 exec_lo, exec_lo, s49
	s_cbranch_execnz .LBB7_22
; %bb.23:                               ;   in Loop: Header=BB7_6 Depth=1
	s_or_b32 exec_lo, exec_lo, s49
.LBB7_24:                               ;   in Loop: Header=BB7_6 Depth=1
	s_delay_alu instid0(SALU_CYCLE_1)
	s_or_b32 exec_lo, exec_lo, s35
	s_cmp_lt_i32 s34, 2
	ds_store_b64 v31, v[0:1]
	ds_store_b32 v32, v4
	s_wait_dscnt 0x0
	s_barrier_signal -1
	s_barrier_wait -1
	s_cbranch_scc1 .LBB7_61
; %bb.25:                               ;   in Loop: Header=BB7_6 Depth=1
	s_and_saveexec_b32 s7, s0
	s_cbranch_execz .LBB7_31
; %bb.26:                               ;   in Loop: Header=BB7_6 Depth=1
	ds_load_b64 v[2:3], v31 offset:1024
	ds_load_b32 v5, v32 offset:512
	s_mov_b32 s49, exec_lo
	s_wait_dscnt 0x1
	v_cmp_lt_f64_e64 s35, v[0:1], v[2:3]
	v_cmpx_nlt_f64_e32 v[0:1], v[2:3]
	s_cbranch_execz .LBB7_28
; %bb.27:                               ;   in Loop: Header=BB7_6 Depth=1
	v_cmp_eq_f64_e32 vcc_lo, v[0:1], v[2:3]
	s_wait_dscnt 0x0
	v_cmp_gt_i32_e64 s6, v4, v5
	s_and_not1_b32 s35, s35, exec_lo
	s_and_b32 s6, vcc_lo, s6
	s_delay_alu instid0(SALU_CYCLE_1) | instskip(NEXT) | instid1(SALU_CYCLE_1)
	s_and_b32 s6, s6, exec_lo
	s_or_b32 s35, s35, s6
.LBB7_28:                               ;   in Loop: Header=BB7_6 Depth=1
	s_or_b32 exec_lo, exec_lo, s49
	s_and_saveexec_b32 s6, s35
	s_cbranch_execz .LBB7_30
; %bb.29:                               ;   in Loop: Header=BB7_6 Depth=1
	v_mov_b64_e32 v[0:1], v[2:3]
	s_wait_dscnt 0x0
	v_mov_b32_e32 v4, v5
	ds_store_b64 v31, v[2:3]
	ds_store_b32 v32, v5
.LBB7_30:                               ;   in Loop: Header=BB7_6 Depth=1
	s_or_b32 exec_lo, exec_lo, s6
.LBB7_31:                               ;   in Loop: Header=BB7_6 Depth=1
	s_delay_alu instid0(SALU_CYCLE_1)
	s_or_b32 exec_lo, exec_lo, s7
	s_wait_dscnt 0x0
	s_barrier_signal -1
	s_barrier_wait -1
	s_and_saveexec_b32 s7, s1
	s_cbranch_execz .LBB7_37
; %bb.32:                               ;   in Loop: Header=BB7_6 Depth=1
	ds_load_b64 v[2:3], v31 offset:512
	ds_load_b32 v5, v32 offset:256
	s_mov_b32 s49, exec_lo
	s_wait_dscnt 0x1
	v_cmp_lt_f64_e64 s35, v[0:1], v[2:3]
	v_cmpx_nlt_f64_e32 v[0:1], v[2:3]
	s_cbranch_execz .LBB7_34
; %bb.33:                               ;   in Loop: Header=BB7_6 Depth=1
	v_cmp_eq_f64_e32 vcc_lo, v[0:1], v[2:3]
	s_wait_dscnt 0x0
	v_cmp_gt_i32_e64 s6, v4, v5
	s_and_not1_b32 s35, s35, exec_lo
	s_and_b32 s6, vcc_lo, s6
	s_delay_alu instid0(SALU_CYCLE_1) | instskip(NEXT) | instid1(SALU_CYCLE_1)
	s_and_b32 s6, s6, exec_lo
	s_or_b32 s35, s35, s6
.LBB7_34:                               ;   in Loop: Header=BB7_6 Depth=1
	s_or_b32 exec_lo, exec_lo, s49
	s_and_saveexec_b32 s6, s35
	s_cbranch_execz .LBB7_36
; %bb.35:                               ;   in Loop: Header=BB7_6 Depth=1
	v_mov_b64_e32 v[0:1], v[2:3]
	s_wait_dscnt 0x0
	v_mov_b32_e32 v4, v5
	ds_store_b64 v31, v[2:3]
	ds_store_b32 v32, v5
.LBB7_36:                               ;   in Loop: Header=BB7_6 Depth=1
	s_or_b32 exec_lo, exec_lo, s6
.LBB7_37:                               ;   in Loop: Header=BB7_6 Depth=1
	s_delay_alu instid0(SALU_CYCLE_1)
	s_or_b32 exec_lo, exec_lo, s7
	s_wait_dscnt 0x0
	s_barrier_signal -1
	s_barrier_wait -1
	s_and_saveexec_b32 s35, s2
	s_cbranch_execz .LBB7_60
; %bb.38:                               ;   in Loop: Header=BB7_6 Depth=1
	ds_load_b64 v[2:3], v31 offset:256
	ds_load_b32 v5, v32 offset:128
	s_mov_b32 s49, exec_lo
	s_wait_dscnt 0x1
	v_cmp_lt_f64_e64 s7, v[0:1], v[2:3]
	v_cmpx_nlt_f64_e32 v[0:1], v[2:3]
	s_cbranch_execz .LBB7_40
; %bb.39:                               ;   in Loop: Header=BB7_6 Depth=1
	v_cmp_eq_f64_e32 vcc_lo, v[0:1], v[2:3]
	s_wait_dscnt 0x0
	v_cmp_gt_i32_e64 s6, v4, v5
	s_and_not1_b32 s7, s7, exec_lo
	s_and_b32 s6, vcc_lo, s6
	s_delay_alu instid0(SALU_CYCLE_1) | instskip(NEXT) | instid1(SALU_CYCLE_1)
	s_and_b32 s6, s6, exec_lo
	s_or_b32 s7, s7, s6
.LBB7_40:                               ;   in Loop: Header=BB7_6 Depth=1
	s_or_b32 exec_lo, exec_lo, s49
	s_and_saveexec_b32 s6, s7
	s_cbranch_execz .LBB7_42
; %bb.41:                               ;   in Loop: Header=BB7_6 Depth=1
	v_mov_b64_e32 v[0:1], v[2:3]
	s_wait_dscnt 0x0
	v_mov_b32_e32 v4, v5
	ds_store_b64 v31, v[2:3]
	ds_store_b32 v32, v5
.LBB7_42:                               ;   in Loop: Header=BB7_6 Depth=1
	s_or_b32 exec_lo, exec_lo, s6
	ds_load_b64 v[2:3], v31 offset:128
	s_wait_dscnt 0x1
	ds_load_b32 v5, v32 offset:64
	s_mov_b32 s49, exec_lo
	s_wait_dscnt 0x1
	v_cmp_lt_f64_e64 s7, v[0:1], v[2:3]
	v_cmpx_nlt_f64_e32 v[0:1], v[2:3]
	s_cbranch_execz .LBB7_44
; %bb.43:                               ;   in Loop: Header=BB7_6 Depth=1
	v_cmp_eq_f64_e32 vcc_lo, v[0:1], v[2:3]
	s_wait_dscnt 0x0
	v_cmp_gt_i32_e64 s6, v4, v5
	s_and_not1_b32 s7, s7, exec_lo
	s_and_b32 s6, vcc_lo, s6
	s_delay_alu instid0(SALU_CYCLE_1) | instskip(NEXT) | instid1(SALU_CYCLE_1)
	s_and_b32 s6, s6, exec_lo
	s_or_b32 s7, s7, s6
.LBB7_44:                               ;   in Loop: Header=BB7_6 Depth=1
	s_or_b32 exec_lo, exec_lo, s49
	s_and_saveexec_b32 s6, s7
	s_cbranch_execz .LBB7_46
; %bb.45:                               ;   in Loop: Header=BB7_6 Depth=1
	v_mov_b64_e32 v[0:1], v[2:3]
	s_wait_dscnt 0x0
	v_mov_b32_e32 v4, v5
	ds_store_b64 v31, v[2:3]
	ds_store_b32 v32, v5
.LBB7_46:                               ;   in Loop: Header=BB7_6 Depth=1
	s_or_b32 exec_lo, exec_lo, s6
	ds_load_b64 v[2:3], v31 offset:64
	s_wait_dscnt 0x1
	ds_load_b32 v5, v32 offset:32
	s_mov_b32 s49, exec_lo
	s_wait_dscnt 0x1
	v_cmp_lt_f64_e64 s7, v[0:1], v[2:3]
	v_cmpx_nlt_f64_e32 v[0:1], v[2:3]
	s_cbranch_execz .LBB7_48
; %bb.47:                               ;   in Loop: Header=BB7_6 Depth=1
	v_cmp_eq_f64_e32 vcc_lo, v[0:1], v[2:3]
	s_wait_dscnt 0x0
	v_cmp_gt_i32_e64 s6, v4, v5
	s_and_not1_b32 s7, s7, exec_lo
	s_and_b32 s6, vcc_lo, s6
	s_delay_alu instid0(SALU_CYCLE_1) | instskip(NEXT) | instid1(SALU_CYCLE_1)
	s_and_b32 s6, s6, exec_lo
	s_or_b32 s7, s7, s6
.LBB7_48:                               ;   in Loop: Header=BB7_6 Depth=1
	s_or_b32 exec_lo, exec_lo, s49
	s_and_saveexec_b32 s6, s7
	s_cbranch_execz .LBB7_50
; %bb.49:                               ;   in Loop: Header=BB7_6 Depth=1
	v_mov_b64_e32 v[0:1], v[2:3]
	s_wait_dscnt 0x0
	v_mov_b32_e32 v4, v5
	ds_store_b64 v31, v[2:3]
	ds_store_b32 v32, v5
.LBB7_50:                               ;   in Loop: Header=BB7_6 Depth=1
	s_or_b32 exec_lo, exec_lo, s6
	ds_load_b64 v[2:3], v31 offset:32
	s_wait_dscnt 0x1
	ds_load_b32 v5, v32 offset:16
	s_mov_b32 s49, exec_lo
	s_wait_dscnt 0x1
	v_cmp_lt_f64_e64 s7, v[0:1], v[2:3]
	v_cmpx_nlt_f64_e32 v[0:1], v[2:3]
	s_cbranch_execz .LBB7_52
; %bb.51:                               ;   in Loop: Header=BB7_6 Depth=1
	v_cmp_eq_f64_e32 vcc_lo, v[0:1], v[2:3]
	s_wait_dscnt 0x0
	v_cmp_gt_i32_e64 s6, v4, v5
	s_and_not1_b32 s7, s7, exec_lo
	s_and_b32 s6, vcc_lo, s6
	s_delay_alu instid0(SALU_CYCLE_1) | instskip(NEXT) | instid1(SALU_CYCLE_1)
	s_and_b32 s6, s6, exec_lo
	s_or_b32 s7, s7, s6
.LBB7_52:                               ;   in Loop: Header=BB7_6 Depth=1
	s_or_b32 exec_lo, exec_lo, s49
	s_and_saveexec_b32 s6, s7
	s_cbranch_execz .LBB7_54
; %bb.53:                               ;   in Loop: Header=BB7_6 Depth=1
	v_mov_b64_e32 v[0:1], v[2:3]
	s_wait_dscnt 0x0
	v_mov_b32_e32 v4, v5
	ds_store_b64 v31, v[2:3]
	ds_store_b32 v32, v5
.LBB7_54:                               ;   in Loop: Header=BB7_6 Depth=1
	s_or_b32 exec_lo, exec_lo, s6
	ds_load_b64 v[2:3], v31 offset:16
	s_wait_dscnt 0x1
	ds_load_b32 v5, v32 offset:8
	s_mov_b32 s49, exec_lo
	s_wait_dscnt 0x1
	v_cmp_lt_f64_e64 s7, v[0:1], v[2:3]
	v_cmpx_nlt_f64_e32 v[0:1], v[2:3]
	s_cbranch_execz .LBB7_56
; %bb.55:                               ;   in Loop: Header=BB7_6 Depth=1
	v_cmp_eq_f64_e32 vcc_lo, v[0:1], v[2:3]
	s_wait_dscnt 0x0
	v_cmp_gt_i32_e64 s6, v4, v5
	s_and_not1_b32 s7, s7, exec_lo
	s_and_b32 s6, vcc_lo, s6
	s_delay_alu instid0(SALU_CYCLE_1) | instskip(NEXT) | instid1(SALU_CYCLE_1)
	s_and_b32 s6, s6, exec_lo
	s_or_b32 s7, s7, s6
.LBB7_56:                               ;   in Loop: Header=BB7_6 Depth=1
	s_or_b32 exec_lo, exec_lo, s49
	s_and_saveexec_b32 s6, s7
	s_cbranch_execz .LBB7_58
; %bb.57:                               ;   in Loop: Header=BB7_6 Depth=1
	v_mov_b64_e32 v[0:1], v[2:3]
	s_wait_dscnt 0x0
	v_mov_b32_e32 v4, v5
	ds_store_b64 v31, v[2:3]
	ds_store_b32 v32, v5
.LBB7_58:                               ;   in Loop: Header=BB7_6 Depth=1
	s_or_b32 exec_lo, exec_lo, s6
	ds_load_b64 v[2:3], v31 offset:8
	s_wait_dscnt 0x1
	ds_load_b32 v5, v32 offset:4
	s_wait_dscnt 0x1
	v_cmp_eq_f64_e32 vcc_lo, v[0:1], v[2:3]
	v_cmp_lt_f64_e64 s6, v[0:1], v[2:3]
	s_wait_dscnt 0x0
	v_cmp_gt_i32_e64 s7, v4, v5
	s_and_b32 s7, vcc_lo, s7
	s_delay_alu instid0(SALU_CYCLE_1) | instskip(NEXT) | instid1(SALU_CYCLE_1)
	s_or_b32 s6, s6, s7
	s_and_b32 exec_lo, exec_lo, s6
	s_cbranch_execz .LBB7_60
; %bb.59:                               ;   in Loop: Header=BB7_6 Depth=1
	ds_store_b64 v31, v[2:3]
	ds_store_b32 v32, v5
.LBB7_60:                               ;   in Loop: Header=BB7_6 Depth=1
	s_or_b32 exec_lo, exec_lo, s35
.LBB7_61:                               ;   in Loop: Header=BB7_6 Depth=1
	s_and_saveexec_b32 s6, s4
	s_cbranch_execz .LBB7_63
; %bb.62:                               ;   in Loop: Header=BB7_6 Depth=1
	s_add_co_i32 s7, s48, s34
	s_delay_alu instid0(SALU_CYCLE_1)
	v_mov_b32_e32 v0, s7
	global_load_b128 v[0:3], v0, s[36:37] scale_offset
	s_wait_loadcnt 0x0
	v_cmp_gt_f64_e32 vcc_lo, 0, v[0:1]
	v_xor_b32_e32 v4, 0x80000000, v1
	v_xor_b32_e32 v5, 0x80000000, v3
	s_delay_alu instid0(VALU_DEP_2) | instskip(SKIP_1) | instid1(VALU_DEP_3)
	v_cndmask_b32_e32 v1, v1, v4, vcc_lo
	v_cmp_gt_f64_e32 vcc_lo, 0, v[2:3]
	v_cndmask_b32_e32 v3, v3, v5, vcc_lo
	s_delay_alu instid0(VALU_DEP_1)
	v_add_f64_e32 v[0:1], v[0:1], v[2:3]
	ds_load_b32 v4, v9 offset:2048
	ds_load_b64 v[2:3], v9
	s_wait_dscnt 0x1
	v_add_nc_u32_e32 v4, -1, v4
	ds_store_b32 v9, v4 offset:3096
	s_wait_dscnt 0x1
	ds_store_b128 v9, v[0:3] offset:3072
.LBB7_63:                               ;   in Loop: Header=BB7_6 Depth=1
	s_or_b32 exec_lo, exec_lo, s6
	s_wait_dscnt 0x0
	s_barrier_signal -1
	s_barrier_wait -1
	ds_load_b128 v[0:3], v9 offset:3072
	s_wait_dscnt 0x0
	v_cmp_lt_f64_e32 vcc_lo, v[0:1], v[2:3]
	v_dual_cndmask_b32 v5, v1, v3 :: v_dual_cndmask_b32 v4, v0, v2
	s_delay_alu instid0(VALU_DEP_1)
	v_cmp_neq_f64_e32 vcc_lo, 0, v[4:5]
	s_cbranch_vccz .LBB7_80
; %bb.64:                               ;   in Loop: Header=BB7_6 Depth=1
	v_mul_f64_e32 v[2:3], 0x3fe47e0f66afed07, v[2:3]
	s_delay_alu instid0(VALU_DEP_1)
	v_cmp_ge_f64_e32 vcc_lo, v[0:1], v[2:3]
	s_cbranch_vccnz .LBB7_176
; %bb.65:                               ;   in Loop: Header=BB7_6 Depth=1
	ds_load_b32 v4, v9 offset:3096
	s_mov_b32 s6, exec_lo
	s_wait_dscnt 0x0
	v_cmpx_le_i32_e64 v26, v4
	s_cbranch_execz .LBB7_68
; %bb.66:                               ;   in Loop: Header=BB7_6 Depth=1
	s_add_co_i32 s7, s61, -1
	v_mad_u32 v0, v4, s21, v26
	v_mad_u32 v2, s7, s22, v26
	v_mov_b32_e32 v5, v26
	s_mov_b32 s7, 0
	s_delay_alu instid0(VALU_DEP_2) | instskip(NEXT) | instid1(VALU_DEP_1)
	v_dual_ashrrev_i32 v1, 31, v0 :: v_dual_ashrrev_i32 v3, 31, v2
	v_lshl_add_u64 v[0:1], v[0:1], 4, s[38:39]
	s_delay_alu instid0(VALU_DEP_2)
	v_lshl_add_u64 v[2:3], v[2:3], 4, s[36:37]
.LBB7_67:                               ;   Parent Loop BB7_6 Depth=1
                                        ; =>  This Inner Loop Header: Depth=2
	global_load_b128 v[16:19], v[0:1], off
	v_add_nc_u32_e32 v5, 0x100, v5
	s_wait_xcnt 0x0
	v_add_nc_u64_e32 v[0:1], 0x1000, v[0:1]
	s_delay_alu instid0(VALU_DEP_2)
	v_cmp_gt_i32_e32 vcc_lo, v5, v4
	s_or_b32 s7, vcc_lo, s7
	s_wait_loadcnt 0x0
	global_store_b128 v[2:3], v[16:19], off
	s_wait_xcnt 0x0
	v_add_nc_u64_e32 v[2:3], 0x1000, v[2:3]
	s_and_not1_b32 exec_lo, exec_lo, s7
	s_cbranch_execnz .LBB7_67
.LBB7_68:                               ;   in Loop: Header=BB7_6 Depth=1
	s_or_b32 exec_lo, exec_lo, s6
	v_sub_nc_u32_e32 v0, s34, v4
	s_mov_b32 s6, exec_lo
	s_delay_alu instid0(VALU_DEP_1)
	v_cmpx_lt_i32_e64 v26, v0
	s_cbranch_execz .LBB7_71
; %bb.69:                               ;   in Loop: Header=BB7_6 Depth=1
	s_add_co_i32 s7, s61, -1
	v_mov_b32_e32 v3, v26
	s_mul_i32 s7, s7, s22
	s_delay_alu instid0(SALU_CYCLE_1) | instskip(SKIP_1) | instid1(VALU_DEP_1)
	v_dual_add_nc_u32 v1, v27, v4 :: v_dual_add_nc_u32 v2, s7, v4
	s_mov_b32 s7, 0
	v_mad_u32 v1, s21, v1, v4
	s_delay_alu instid0(VALU_DEP_2)
	v_add_nc_u32_e32 v2, 1, v2
.LBB7_70:                               ;   Parent Loop BB7_6 Depth=1
                                        ; =>  This Inner Loop Header: Depth=2
	global_load_b128 v[4:7], v1, s[10:11] scale_offset
	s_wait_xcnt 0x0
	v_dual_add_nc_u32 v16, v2, v3 :: v_dual_add_nc_u32 v1, s57, v1
	v_add_nc_u32_e32 v3, 0x100, v3
	s_delay_alu instid0(VALU_DEP_1)
	v_cmp_ge_i32_e32 vcc_lo, v3, v0
	s_or_b32 s7, vcc_lo, s7
	s_wait_loadcnt 0x0
	global_store_b128 v16, v[4:7], s[36:37] scale_offset
	s_wait_xcnt 0x0
	s_and_not1_b32 exec_lo, exec_lo, s7
	s_cbranch_execnz .LBB7_70
.LBB7_71:                               ;   in Loop: Header=BB7_6 Depth=1
	s_or_b32 exec_lo, exec_lo, s6
	s_delay_alu instid0(SALU_CYCLE_1)
	s_and_not1_b32 vcc_lo, exec_lo, s62
	s_mov_b32 s6, -1
	s_wait_storecnt 0x0
	s_barrier_signal -1
	s_barrier_wait -1
                                        ; implicit-def: $sgpr50
	s_cbranch_vccnz .LBB7_73
; %bb.72:                               ;   in Loop: Header=BB7_6 Depth=1
	s_add_co_i32 s6, s61, -1
	s_delay_alu instid0(SALU_CYCLE_1)
	s_mul_i32 s50, s6, s22
	s_mov_b32 s6, 0
	s_ashr_i32 s51, s50, 31
.LBB7_73:                               ;   in Loop: Header=BB7_6 Depth=1
	s_and_not1_b32 vcc_lo, exec_lo, s6
	s_cbranch_vccnz .LBB7_82
; %bb.74:                               ;   in Loop: Header=BB7_6 Depth=1
	s_add_co_i32 s6, s61, 1
	s_delay_alu instid0(SALU_CYCLE_1) | instskip(NEXT) | instid1(SALU_CYCLE_1)
	s_mul_i32 s6, s6, s22
	s_sub_co_i32 s50, s6, s56
	s_delay_alu instid0(SALU_CYCLE_1)
	s_ashr_i32 s51, s50, 31
	s_and_saveexec_b32 s35, s5
	s_cbranch_execz .LBB7_81
; %bb.75:                               ;   in Loop: Header=BB7_6 Depth=1
	ds_load_b32 v0, v9 offset:3096
	s_add_co_i32 s7, s34, 1
	s_not_b32 s49, s34
	s_mul_i32 s62, s7, s21
	s_add_co_i32 s49, s22, s49
	s_ashr_i32 s63, s62, 31
	s_ashr_i32 s7, s6, 31
	s_lshl_b64 s[64:65], s[50:51], 4
	s_cmp_gt_i32 s49, 0
	v_lshl_add_u64 v[2:3], s[62:63], 4, v[10:11]
	s_cselect_b32 s52, -1, 0
	s_lshl_b64 s[6:7], s[6:7], 4
	s_mov_b32 s53, 0
	s_wait_dscnt 0x0
	v_dual_mov_b32 v20, v26 :: v_dual_ashrrev_i32 v1, 31, v0
	s_delay_alu instid0(VALU_DEP_1) | instskip(NEXT) | instid1(VALU_DEP_1)
	v_lshlrev_b64_e32 v[0:1], 4, v[0:1]
	v_add_nc_u64_e32 v[0:1], s[6:7], v[0:1]
	s_add_nc_u64 s[6:7], s[36:37], s[64:65]
	s_delay_alu instid0(VALU_DEP_1)
	v_add_nc_u64_e32 v[0:1], s[42:43], v[0:1]
	s_branch .LBB7_77
.LBB7_76:                               ;   in Loop: Header=BB7_77 Depth=2
	global_load_b128 v[16:19], v20, s[6:7] scale_offset
	v_fma_f64 v[22:23], 0x80000000, v[4:5], -v[6:7]
	v_fma_f64 v[6:7], v[6:7], 0, -v[4:5]
	v_add_nc_u64_e32 v[2:3], 0x1000, v[2:3]
	s_wait_loadcnt 0x0
	v_fmamk_f64 v[4:5], v[18:19], 0x80000000, v[16:17]
	v_fmac_f64_e32 v[18:19], 0, v[16:17]
	s_delay_alu instid0(VALU_DEP_2) | instskip(NEXT) | instid1(VALU_DEP_2)
	v_add_f64_e32 v[4:5], v[22:23], v[4:5]
	v_add_f64_e32 v[6:7], v[6:7], v[18:19]
	global_store_b128 v20, v[4:7], s[6:7] scale_offset
	s_wait_xcnt 0x0
	v_add_nc_u32_e32 v20, 0x100, v20
	s_delay_alu instid0(VALU_DEP_1) | instskip(SKIP_1) | instid1(SALU_CYCLE_1)
	v_cmp_lt_i32_e32 vcc_lo, s34, v20
	s_or_b32 s53, vcc_lo, s53
	s_and_not1_b32 exec_lo, exec_lo, s53
	s_cbranch_execz .LBB7_81
.LBB7_77:                               ;   Parent Loop BB7_6 Depth=1
                                        ; =>  This Loop Header: Depth=2
                                        ;       Child Loop BB7_79 Depth 3
	v_mov_b64_e32 v[4:5], 0
	v_mov_b64_e32 v[6:7], 0
	s_and_not1_b32 vcc_lo, exec_lo, s52
	s_cbranch_vccnz .LBB7_76
; %bb.78:                               ;   in Loop: Header=BB7_77 Depth=2
	s_delay_alu instid0(VALU_DEP_3)
	v_mov_b64_e32 v[16:17], v[0:1]
	v_mov_b64_e32 v[18:19], v[2:3]
	s_mov_b32 s62, s49
.LBB7_79:                               ;   Parent Loop BB7_6 Depth=1
                                        ;     Parent Loop BB7_77 Depth=2
                                        ; =>    This Inner Loop Header: Depth=3
	global_load_b128 v[22:25], v[16:17], off offset:-8
	global_load_b128 v[34:37], v[18:19], off offset:-8
	s_wait_xcnt 0x0
	v_add_nc_u64_e32 v[18:19], s[40:41], v[18:19]
	v_add_nc_u64_e32 v[16:17], s[44:45], v[16:17]
	s_add_co_i32 s62, s62, -1
	s_delay_alu instid0(SALU_CYCLE_1) | instskip(SKIP_3) | instid1(VALU_DEP_2)
	s_cmp_eq_u32 s62, 0
	s_wait_loadcnt 0x0
	v_mul_f64_e32 v[38:39], v[24:25], v[36:37]
	v_mul_f64_e32 v[36:37], v[22:23], v[36:37]
	v_fma_f64 v[22:23], v[22:23], v[34:35], -v[38:39]
	s_delay_alu instid0(VALU_DEP_2) | instskip(NEXT) | instid1(VALU_DEP_2)
	v_fmac_f64_e32 v[36:37], v[24:25], v[34:35]
	v_add_f64_e32 v[6:7], v[6:7], v[22:23]
	s_delay_alu instid0(VALU_DEP_2)
	v_add_f64_e32 v[4:5], v[4:5], v[36:37]
	s_cbranch_scc0 .LBB7_79
	s_branch .LBB7_76
.LBB7_80:                               ;   in Loop: Header=BB7_6 Depth=1
	s_mov_b32 s5, -1
                                        ; implicit-def: $sgpr51
                                        ; implicit-def: $sgpr49
                                        ; implicit-def: $sgpr6
	s_branch .LBB7_225
.LBB7_81:                               ;   in Loop: Header=BB7_6 Depth=1
	s_or_b32 exec_lo, exec_lo, s35
	s_wait_storecnt 0x0
	s_barrier_signal -1
	s_barrier_wait -1
.LBB7_82:                               ;   in Loop: Header=BB7_6 Depth=1
	ds_load_b32 v2, v9 offset:3096
	v_mov_b64_e32 v[0:1], 0
	v_bfrev_b32_e32 v4, -2
	s_mov_b32 s35, exec_lo
	s_wait_dscnt 0x0
	v_sub_nc_u32_e32 v5, s34, v2
	s_delay_alu instid0(VALU_DEP_1)
	v_cmpx_lt_i32_e64 v26, v5
	s_cbranch_execz .LBB7_86
; %bb.83:                               ;   in Loop: Header=BB7_6 Depth=1
	v_dual_mov_b32 v6, v26 :: v_dual_ashrrev_i32 v3, 31, v2
	s_lshl_b64 s[6:7], s[50:51], 4
	v_bfrev_b32_e32 v4, -2
	s_mov_b32 s49, 0
	s_delay_alu instid0(VALU_DEP_2) | instskip(NEXT) | instid1(VALU_DEP_1)
	v_lshlrev_b64_e32 v[0:1], 4, v[2:3]
	v_add_nc_u64_e32 v[0:1], s[6:7], v[0:1]
	s_delay_alu instid0(VALU_DEP_1)
	v_add_nc_u64_e32 v[2:3], v[14:15], v[0:1]
	v_mov_b64_e32 v[0:1], 0
.LBB7_84:                               ;   Parent Loop BB7_6 Depth=1
                                        ; =>  This Inner Loop Header: Depth=2
	global_load_b128 v[16:19], v[2:3], off
	s_wait_xcnt 0x0
	v_add_nc_u64_e32 v[2:3], 0x1000, v[2:3]
	s_wait_loadcnt 0x0
	v_cmp_gt_f64_e32 vcc_lo, 0, v[18:19]
	v_cmp_gt_f64_e64 s6, 0, v[16:17]
	v_xor_b32_e32 v7, 0x80000000, v17
	v_xor_b32_e32 v20, 0x80000000, v19
	s_delay_alu instid0(VALU_DEP_1) | instskip(SKIP_1) | instid1(VALU_DEP_2)
	v_dual_cndmask_b32 v19, v19, v20, vcc_lo :: v_dual_cndmask_b32 v17, v17, v7, s6
	v_cmp_eq_u32_e64 s6, 0x7fffffff, v4
	v_add_f64_e32 v[16:17], v[16:17], v[18:19]
	s_delay_alu instid0(VALU_DEP_1) | instskip(SKIP_1) | instid1(SALU_CYCLE_1)
	v_cmp_lt_f64_e32 vcc_lo, v[0:1], v[16:17]
	s_or_b32 vcc_lo, vcc_lo, s6
	v_dual_add_nc_u32 v7, 1, v6 :: v_dual_cndmask_b32 v1, v1, v17, vcc_lo
	v_add_nc_u32_e32 v6, 0x100, v6
	v_cndmask_b32_e32 v0, v0, v16, vcc_lo
	s_delay_alu instid0(VALU_DEP_3) | instskip(NEXT) | instid1(VALU_DEP_3)
	v_cndmask_b32_e32 v4, v4, v7, vcc_lo
	v_cmp_ge_i32_e64 s7, v6, v5
	s_or_b32 s49, s7, s49
	s_delay_alu instid0(SALU_CYCLE_1)
	s_and_not1_b32 exec_lo, exec_lo, s49
	s_cbranch_execnz .LBB7_84
; %bb.85:                               ;   in Loop: Header=BB7_6 Depth=1
	s_or_b32 exec_lo, exec_lo, s49
.LBB7_86:                               ;   in Loop: Header=BB7_6 Depth=1
	s_delay_alu instid0(SALU_CYCLE_1)
	s_or_b32 exec_lo, exec_lo, s35
	v_cmp_gt_i32_e32 vcc_lo, 2, v5
	ds_store_b64 v31, v[0:1]
	ds_store_b32 v32, v4
	s_wait_dscnt 0x0
	s_barrier_signal -1
	s_barrier_wait -1
	s_cbranch_vccnz .LBB7_123
; %bb.87:                               ;   in Loop: Header=BB7_6 Depth=1
	s_and_saveexec_b32 s7, s0
	s_cbranch_execz .LBB7_93
; %bb.88:                               ;   in Loop: Header=BB7_6 Depth=1
	ds_load_b64 v[2:3], v31 offset:1024
	ds_load_b32 v5, v32 offset:512
	s_mov_b32 s49, exec_lo
	s_wait_dscnt 0x1
	v_cmp_lt_f64_e64 s35, v[0:1], v[2:3]
	v_cmpx_nlt_f64_e32 v[0:1], v[2:3]
	s_cbranch_execz .LBB7_90
; %bb.89:                               ;   in Loop: Header=BB7_6 Depth=1
	v_cmp_eq_f64_e32 vcc_lo, v[0:1], v[2:3]
	s_wait_dscnt 0x0
	v_cmp_gt_i32_e64 s6, v4, v5
	s_and_not1_b32 s35, s35, exec_lo
	s_and_b32 s6, vcc_lo, s6
	s_delay_alu instid0(SALU_CYCLE_1) | instskip(NEXT) | instid1(SALU_CYCLE_1)
	s_and_b32 s6, s6, exec_lo
	s_or_b32 s35, s35, s6
.LBB7_90:                               ;   in Loop: Header=BB7_6 Depth=1
	s_or_b32 exec_lo, exec_lo, s49
	s_and_saveexec_b32 s6, s35
	s_cbranch_execz .LBB7_92
; %bb.91:                               ;   in Loop: Header=BB7_6 Depth=1
	v_mov_b64_e32 v[0:1], v[2:3]
	s_wait_dscnt 0x0
	v_mov_b32_e32 v4, v5
	ds_store_b64 v31, v[2:3]
	ds_store_b32 v32, v5
.LBB7_92:                               ;   in Loop: Header=BB7_6 Depth=1
	s_or_b32 exec_lo, exec_lo, s6
.LBB7_93:                               ;   in Loop: Header=BB7_6 Depth=1
	s_delay_alu instid0(SALU_CYCLE_1)
	s_or_b32 exec_lo, exec_lo, s7
	s_wait_dscnt 0x0
	s_barrier_signal -1
	s_barrier_wait -1
	s_and_saveexec_b32 s7, s1
	s_cbranch_execz .LBB7_99
; %bb.94:                               ;   in Loop: Header=BB7_6 Depth=1
	ds_load_b64 v[2:3], v31 offset:512
	ds_load_b32 v5, v32 offset:256
	s_mov_b32 s49, exec_lo
	s_wait_dscnt 0x1
	v_cmp_lt_f64_e64 s35, v[0:1], v[2:3]
	v_cmpx_nlt_f64_e32 v[0:1], v[2:3]
	s_cbranch_execz .LBB7_96
; %bb.95:                               ;   in Loop: Header=BB7_6 Depth=1
	v_cmp_eq_f64_e32 vcc_lo, v[0:1], v[2:3]
	s_wait_dscnt 0x0
	v_cmp_gt_i32_e64 s6, v4, v5
	s_and_not1_b32 s35, s35, exec_lo
	s_and_b32 s6, vcc_lo, s6
	s_delay_alu instid0(SALU_CYCLE_1) | instskip(NEXT) | instid1(SALU_CYCLE_1)
	s_and_b32 s6, s6, exec_lo
	s_or_b32 s35, s35, s6
.LBB7_96:                               ;   in Loop: Header=BB7_6 Depth=1
	s_or_b32 exec_lo, exec_lo, s49
	s_and_saveexec_b32 s6, s35
	s_cbranch_execz .LBB7_98
; %bb.97:                               ;   in Loop: Header=BB7_6 Depth=1
	v_mov_b64_e32 v[0:1], v[2:3]
	s_wait_dscnt 0x0
	v_mov_b32_e32 v4, v5
	ds_store_b64 v31, v[2:3]
	ds_store_b32 v32, v5
.LBB7_98:                               ;   in Loop: Header=BB7_6 Depth=1
	s_or_b32 exec_lo, exec_lo, s6
.LBB7_99:                               ;   in Loop: Header=BB7_6 Depth=1
	s_delay_alu instid0(SALU_CYCLE_1)
	s_or_b32 exec_lo, exec_lo, s7
	s_wait_dscnt 0x0
	s_barrier_signal -1
	s_barrier_wait -1
	s_and_saveexec_b32 s35, s2
	s_cbranch_execz .LBB7_122
; %bb.100:                              ;   in Loop: Header=BB7_6 Depth=1
	ds_load_b64 v[2:3], v31 offset:256
	ds_load_b32 v5, v32 offset:128
	s_mov_b32 s49, exec_lo
	s_wait_dscnt 0x1
	v_cmp_lt_f64_e64 s7, v[0:1], v[2:3]
	v_cmpx_nlt_f64_e32 v[0:1], v[2:3]
	s_cbranch_execz .LBB7_102
; %bb.101:                              ;   in Loop: Header=BB7_6 Depth=1
	v_cmp_eq_f64_e32 vcc_lo, v[0:1], v[2:3]
	s_wait_dscnt 0x0
	v_cmp_gt_i32_e64 s6, v4, v5
	s_and_not1_b32 s7, s7, exec_lo
	s_and_b32 s6, vcc_lo, s6
	s_delay_alu instid0(SALU_CYCLE_1) | instskip(NEXT) | instid1(SALU_CYCLE_1)
	s_and_b32 s6, s6, exec_lo
	s_or_b32 s7, s7, s6
.LBB7_102:                              ;   in Loop: Header=BB7_6 Depth=1
	s_or_b32 exec_lo, exec_lo, s49
	s_and_saveexec_b32 s6, s7
	s_cbranch_execz .LBB7_104
; %bb.103:                              ;   in Loop: Header=BB7_6 Depth=1
	v_mov_b64_e32 v[0:1], v[2:3]
	s_wait_dscnt 0x0
	v_mov_b32_e32 v4, v5
	ds_store_b64 v31, v[2:3]
	ds_store_b32 v32, v5
.LBB7_104:                              ;   in Loop: Header=BB7_6 Depth=1
	s_or_b32 exec_lo, exec_lo, s6
	ds_load_b64 v[2:3], v31 offset:128
	s_wait_dscnt 0x1
	ds_load_b32 v5, v32 offset:64
	s_mov_b32 s49, exec_lo
	s_wait_dscnt 0x1
	v_cmp_lt_f64_e64 s7, v[0:1], v[2:3]
	v_cmpx_nlt_f64_e32 v[0:1], v[2:3]
	s_cbranch_execz .LBB7_106
; %bb.105:                              ;   in Loop: Header=BB7_6 Depth=1
	v_cmp_eq_f64_e32 vcc_lo, v[0:1], v[2:3]
	s_wait_dscnt 0x0
	v_cmp_gt_i32_e64 s6, v4, v5
	s_and_not1_b32 s7, s7, exec_lo
	s_and_b32 s6, vcc_lo, s6
	s_delay_alu instid0(SALU_CYCLE_1) | instskip(NEXT) | instid1(SALU_CYCLE_1)
	s_and_b32 s6, s6, exec_lo
	s_or_b32 s7, s7, s6
.LBB7_106:                              ;   in Loop: Header=BB7_6 Depth=1
	s_or_b32 exec_lo, exec_lo, s49
	s_and_saveexec_b32 s6, s7
	s_cbranch_execz .LBB7_108
; %bb.107:                              ;   in Loop: Header=BB7_6 Depth=1
	v_mov_b64_e32 v[0:1], v[2:3]
	s_wait_dscnt 0x0
	v_mov_b32_e32 v4, v5
	ds_store_b64 v31, v[2:3]
	ds_store_b32 v32, v5
.LBB7_108:                              ;   in Loop: Header=BB7_6 Depth=1
	s_or_b32 exec_lo, exec_lo, s6
	ds_load_b64 v[2:3], v31 offset:64
	s_wait_dscnt 0x1
	;; [unrolled: 29-line block ×5, first 2 shown]
	ds_load_b32 v5, v32 offset:4
	s_wait_dscnt 0x1
	v_cmp_eq_f64_e32 vcc_lo, v[0:1], v[2:3]
	v_cmp_lt_f64_e64 s6, v[0:1], v[2:3]
	s_wait_dscnt 0x0
	v_cmp_gt_i32_e64 s7, v4, v5
	s_and_b32 s7, vcc_lo, s7
	s_delay_alu instid0(SALU_CYCLE_1) | instskip(NEXT) | instid1(SALU_CYCLE_1)
	s_or_b32 s6, s6, s7
	s_and_b32 exec_lo, exec_lo, s6
	s_cbranch_execz .LBB7_122
; %bb.121:                              ;   in Loop: Header=BB7_6 Depth=1
	ds_store_b64 v31, v[2:3]
	ds_store_b32 v32, v5
.LBB7_122:                              ;   in Loop: Header=BB7_6 Depth=1
	s_or_b32 exec_lo, exec_lo, s35
.LBB7_123:                              ;   in Loop: Header=BB7_6 Depth=1
	s_and_saveexec_b32 s6, s4
	s_cbranch_execz .LBB7_125
; %bb.124:                              ;   in Loop: Header=BB7_6 Depth=1
	ds_load_b64 v[0:1], v9
	s_wait_dscnt 0x0
	ds_store_b64 v9, v[0:1] offset:3088
.LBB7_125:                              ;   in Loop: Header=BB7_6 Depth=1
	s_or_b32 exec_lo, exec_lo, s6
	ds_load_b32 v5, v9 offset:3096
	s_wait_dscnt 0x0
	v_cmp_gt_i32_e32 vcc_lo, 1, v5
	s_cbranch_vccnz .LBB7_170
; %bb.126:                              ;   in Loop: Header=BB7_6 Depth=1
	v_mov_b64_e32 v[0:1], 0
	v_bfrev_b32_e32 v4, -2
	s_mov_b32 s35, exec_lo
	v_cmpx_lt_i32_e64 v26, v5
	s_cbranch_execz .LBB7_130
; %bb.127:                              ;   in Loop: Header=BB7_6 Depth=1
	v_mov_b64_e32 v[0:1], 0
	v_lshl_add_u64 v[2:3], s[50:51], 4, v[12:13]
	v_bfrev_b32_e32 v4, -2
	v_mov_b32_e32 v6, v26
	s_mov_b32 s49, 0
.LBB7_128:                              ;   Parent Loop BB7_6 Depth=1
                                        ; =>  This Inner Loop Header: Depth=2
	global_load_b128 v[16:19], v[2:3], off offset:-8
	s_wait_xcnt 0x0
	v_add_nc_u64_e32 v[2:3], 0x1000, v[2:3]
	s_wait_loadcnt 0x0
	v_cmp_gt_f64_e32 vcc_lo, 0, v[18:19]
	v_cmp_gt_f64_e64 s6, 0, v[16:17]
	v_xor_b32_e32 v7, 0x80000000, v17
	v_xor_b32_e32 v20, 0x80000000, v19
	s_delay_alu instid0(VALU_DEP_1) | instskip(SKIP_1) | instid1(VALU_DEP_2)
	v_dual_cndmask_b32 v19, v19, v20, vcc_lo :: v_dual_cndmask_b32 v17, v17, v7, s6
	v_cmp_eq_u32_e64 s6, 0x7fffffff, v4
	v_add_f64_e32 v[16:17], v[16:17], v[18:19]
	s_delay_alu instid0(VALU_DEP_1) | instskip(SKIP_1) | instid1(SALU_CYCLE_1)
	v_cmp_lt_f64_e32 vcc_lo, v[0:1], v[16:17]
	s_or_b32 vcc_lo, vcc_lo, s6
	v_dual_add_nc_u32 v7, 1, v6 :: v_dual_cndmask_b32 v1, v1, v17, vcc_lo
	v_add_nc_u32_e32 v6, 0x100, v6
	v_cndmask_b32_e32 v0, v0, v16, vcc_lo
	s_delay_alu instid0(VALU_DEP_3) | instskip(NEXT) | instid1(VALU_DEP_3)
	v_cndmask_b32_e32 v4, v4, v7, vcc_lo
	v_cmp_ge_i32_e64 s7, v6, v5
	s_or_b32 s49, s7, s49
	s_delay_alu instid0(SALU_CYCLE_1)
	s_and_not1_b32 exec_lo, exec_lo, s49
	s_cbranch_execnz .LBB7_128
; %bb.129:                              ;   in Loop: Header=BB7_6 Depth=1
	s_or_b32 exec_lo, exec_lo, s49
.LBB7_130:                              ;   in Loop: Header=BB7_6 Depth=1
	s_delay_alu instid0(SALU_CYCLE_1)
	s_or_b32 exec_lo, exec_lo, s35
	v_cmp_eq_u32_e32 vcc_lo, 1, v5
	ds_store_b64 v31, v[0:1]
	ds_store_b32 v32, v4
	s_wait_dscnt 0x0
	s_barrier_signal -1
	s_barrier_wait -1
	s_cbranch_vccnz .LBB7_167
; %bb.131:                              ;   in Loop: Header=BB7_6 Depth=1
	s_and_saveexec_b32 s7, s0
	s_cbranch_execz .LBB7_137
; %bb.132:                              ;   in Loop: Header=BB7_6 Depth=1
	ds_load_b64 v[2:3], v31 offset:1024
	ds_load_b32 v5, v32 offset:512
	s_mov_b32 s49, exec_lo
	s_wait_dscnt 0x1
	v_cmp_lt_f64_e64 s35, v[0:1], v[2:3]
	v_cmpx_nlt_f64_e32 v[0:1], v[2:3]
	s_cbranch_execz .LBB7_134
; %bb.133:                              ;   in Loop: Header=BB7_6 Depth=1
	v_cmp_eq_f64_e32 vcc_lo, v[0:1], v[2:3]
	s_wait_dscnt 0x0
	v_cmp_gt_i32_e64 s6, v4, v5
	s_and_not1_b32 s35, s35, exec_lo
	s_and_b32 s6, vcc_lo, s6
	s_delay_alu instid0(SALU_CYCLE_1) | instskip(NEXT) | instid1(SALU_CYCLE_1)
	s_and_b32 s6, s6, exec_lo
	s_or_b32 s35, s35, s6
.LBB7_134:                              ;   in Loop: Header=BB7_6 Depth=1
	s_or_b32 exec_lo, exec_lo, s49
	s_and_saveexec_b32 s6, s35
	s_cbranch_execz .LBB7_136
; %bb.135:                              ;   in Loop: Header=BB7_6 Depth=1
	v_mov_b64_e32 v[0:1], v[2:3]
	s_wait_dscnt 0x0
	v_mov_b32_e32 v4, v5
	ds_store_b64 v31, v[2:3]
	ds_store_b32 v32, v5
.LBB7_136:                              ;   in Loop: Header=BB7_6 Depth=1
	s_or_b32 exec_lo, exec_lo, s6
.LBB7_137:                              ;   in Loop: Header=BB7_6 Depth=1
	s_delay_alu instid0(SALU_CYCLE_1)
	s_or_b32 exec_lo, exec_lo, s7
	s_wait_dscnt 0x0
	s_barrier_signal -1
	s_barrier_wait -1
	s_and_saveexec_b32 s7, s1
	s_cbranch_execz .LBB7_143
; %bb.138:                              ;   in Loop: Header=BB7_6 Depth=1
	ds_load_b64 v[2:3], v31 offset:512
	ds_load_b32 v5, v32 offset:256
	s_mov_b32 s49, exec_lo
	s_wait_dscnt 0x1
	v_cmp_lt_f64_e64 s35, v[0:1], v[2:3]
	v_cmpx_nlt_f64_e32 v[0:1], v[2:3]
	s_cbranch_execz .LBB7_140
; %bb.139:                              ;   in Loop: Header=BB7_6 Depth=1
	v_cmp_eq_f64_e32 vcc_lo, v[0:1], v[2:3]
	s_wait_dscnt 0x0
	v_cmp_gt_i32_e64 s6, v4, v5
	s_and_not1_b32 s35, s35, exec_lo
	s_and_b32 s6, vcc_lo, s6
	s_delay_alu instid0(SALU_CYCLE_1) | instskip(NEXT) | instid1(SALU_CYCLE_1)
	s_and_b32 s6, s6, exec_lo
	s_or_b32 s35, s35, s6
.LBB7_140:                              ;   in Loop: Header=BB7_6 Depth=1
	s_or_b32 exec_lo, exec_lo, s49
	s_and_saveexec_b32 s6, s35
	s_cbranch_execz .LBB7_142
; %bb.141:                              ;   in Loop: Header=BB7_6 Depth=1
	v_mov_b64_e32 v[0:1], v[2:3]
	s_wait_dscnt 0x0
	v_mov_b32_e32 v4, v5
	ds_store_b64 v31, v[2:3]
	ds_store_b32 v32, v5
.LBB7_142:                              ;   in Loop: Header=BB7_6 Depth=1
	s_or_b32 exec_lo, exec_lo, s6
.LBB7_143:                              ;   in Loop: Header=BB7_6 Depth=1
	s_delay_alu instid0(SALU_CYCLE_1)
	s_or_b32 exec_lo, exec_lo, s7
	s_wait_dscnt 0x0
	s_barrier_signal -1
	s_barrier_wait -1
	s_and_saveexec_b32 s35, s2
	s_cbranch_execz .LBB7_166
; %bb.144:                              ;   in Loop: Header=BB7_6 Depth=1
	ds_load_b64 v[2:3], v31 offset:256
	ds_load_b32 v5, v32 offset:128
	s_mov_b32 s49, exec_lo
	s_wait_dscnt 0x1
	v_cmp_lt_f64_e64 s7, v[0:1], v[2:3]
	v_cmpx_nlt_f64_e32 v[0:1], v[2:3]
	s_cbranch_execz .LBB7_146
; %bb.145:                              ;   in Loop: Header=BB7_6 Depth=1
	v_cmp_eq_f64_e32 vcc_lo, v[0:1], v[2:3]
	s_wait_dscnt 0x0
	v_cmp_gt_i32_e64 s6, v4, v5
	s_and_not1_b32 s7, s7, exec_lo
	s_and_b32 s6, vcc_lo, s6
	s_delay_alu instid0(SALU_CYCLE_1) | instskip(NEXT) | instid1(SALU_CYCLE_1)
	s_and_b32 s6, s6, exec_lo
	s_or_b32 s7, s7, s6
.LBB7_146:                              ;   in Loop: Header=BB7_6 Depth=1
	s_or_b32 exec_lo, exec_lo, s49
	s_and_saveexec_b32 s6, s7
	s_cbranch_execz .LBB7_148
; %bb.147:                              ;   in Loop: Header=BB7_6 Depth=1
	v_mov_b64_e32 v[0:1], v[2:3]
	s_wait_dscnt 0x0
	v_mov_b32_e32 v4, v5
	ds_store_b64 v31, v[2:3]
	ds_store_b32 v32, v5
.LBB7_148:                              ;   in Loop: Header=BB7_6 Depth=1
	s_or_b32 exec_lo, exec_lo, s6
	ds_load_b64 v[2:3], v31 offset:128
	s_wait_dscnt 0x1
	ds_load_b32 v5, v32 offset:64
	s_mov_b32 s49, exec_lo
	s_wait_dscnt 0x1
	v_cmp_lt_f64_e64 s7, v[0:1], v[2:3]
	v_cmpx_nlt_f64_e32 v[0:1], v[2:3]
	s_cbranch_execz .LBB7_150
; %bb.149:                              ;   in Loop: Header=BB7_6 Depth=1
	v_cmp_eq_f64_e32 vcc_lo, v[0:1], v[2:3]
	s_wait_dscnt 0x0
	v_cmp_gt_i32_e64 s6, v4, v5
	s_and_not1_b32 s7, s7, exec_lo
	s_and_b32 s6, vcc_lo, s6
	s_delay_alu instid0(SALU_CYCLE_1) | instskip(NEXT) | instid1(SALU_CYCLE_1)
	s_and_b32 s6, s6, exec_lo
	s_or_b32 s7, s7, s6
.LBB7_150:                              ;   in Loop: Header=BB7_6 Depth=1
	s_or_b32 exec_lo, exec_lo, s49
	s_and_saveexec_b32 s6, s7
	s_cbranch_execz .LBB7_152
; %bb.151:                              ;   in Loop: Header=BB7_6 Depth=1
	v_mov_b64_e32 v[0:1], v[2:3]
	s_wait_dscnt 0x0
	v_mov_b32_e32 v4, v5
	ds_store_b64 v31, v[2:3]
	ds_store_b32 v32, v5
.LBB7_152:                              ;   in Loop: Header=BB7_6 Depth=1
	s_or_b32 exec_lo, exec_lo, s6
	ds_load_b64 v[2:3], v31 offset:64
	s_wait_dscnt 0x1
	ds_load_b32 v5, v32 offset:32
	s_mov_b32 s49, exec_lo
	s_wait_dscnt 0x1
	v_cmp_lt_f64_e64 s7, v[0:1], v[2:3]
	v_cmpx_nlt_f64_e32 v[0:1], v[2:3]
	s_cbranch_execz .LBB7_154
; %bb.153:                              ;   in Loop: Header=BB7_6 Depth=1
	v_cmp_eq_f64_e32 vcc_lo, v[0:1], v[2:3]
	s_wait_dscnt 0x0
	v_cmp_gt_i32_e64 s6, v4, v5
	s_and_not1_b32 s7, s7, exec_lo
	s_and_b32 s6, vcc_lo, s6
	s_delay_alu instid0(SALU_CYCLE_1) | instskip(NEXT) | instid1(SALU_CYCLE_1)
	s_and_b32 s6, s6, exec_lo
	s_or_b32 s7, s7, s6
.LBB7_154:                              ;   in Loop: Header=BB7_6 Depth=1
	s_or_b32 exec_lo, exec_lo, s49
	s_and_saveexec_b32 s6, s7
	s_cbranch_execz .LBB7_156
; %bb.155:                              ;   in Loop: Header=BB7_6 Depth=1
	v_mov_b64_e32 v[0:1], v[2:3]
	s_wait_dscnt 0x0
	v_mov_b32_e32 v4, v5
	ds_store_b64 v31, v[2:3]
	ds_store_b32 v32, v5
.LBB7_156:                              ;   in Loop: Header=BB7_6 Depth=1
	s_or_b32 exec_lo, exec_lo, s6
	ds_load_b64 v[2:3], v31 offset:32
	s_wait_dscnt 0x1
	ds_load_b32 v5, v32 offset:16
	s_mov_b32 s49, exec_lo
	s_wait_dscnt 0x1
	v_cmp_lt_f64_e64 s7, v[0:1], v[2:3]
	v_cmpx_nlt_f64_e32 v[0:1], v[2:3]
	s_cbranch_execz .LBB7_158
; %bb.157:                              ;   in Loop: Header=BB7_6 Depth=1
	v_cmp_eq_f64_e32 vcc_lo, v[0:1], v[2:3]
	s_wait_dscnt 0x0
	v_cmp_gt_i32_e64 s6, v4, v5
	s_and_not1_b32 s7, s7, exec_lo
	s_and_b32 s6, vcc_lo, s6
	s_delay_alu instid0(SALU_CYCLE_1) | instskip(NEXT) | instid1(SALU_CYCLE_1)
	s_and_b32 s6, s6, exec_lo
	s_or_b32 s7, s7, s6
.LBB7_158:                              ;   in Loop: Header=BB7_6 Depth=1
	s_or_b32 exec_lo, exec_lo, s49
	s_and_saveexec_b32 s6, s7
	s_cbranch_execz .LBB7_160
; %bb.159:                              ;   in Loop: Header=BB7_6 Depth=1
	v_mov_b64_e32 v[0:1], v[2:3]
	s_wait_dscnt 0x0
	v_mov_b32_e32 v4, v5
	ds_store_b64 v31, v[2:3]
	ds_store_b32 v32, v5
.LBB7_160:                              ;   in Loop: Header=BB7_6 Depth=1
	s_or_b32 exec_lo, exec_lo, s6
	ds_load_b64 v[2:3], v31 offset:16
	s_wait_dscnt 0x1
	ds_load_b32 v5, v32 offset:8
	s_mov_b32 s49, exec_lo
	s_wait_dscnt 0x1
	v_cmp_lt_f64_e64 s7, v[0:1], v[2:3]
	v_cmpx_nlt_f64_e32 v[0:1], v[2:3]
	s_cbranch_execz .LBB7_162
; %bb.161:                              ;   in Loop: Header=BB7_6 Depth=1
	v_cmp_eq_f64_e32 vcc_lo, v[0:1], v[2:3]
	s_wait_dscnt 0x0
	v_cmp_gt_i32_e64 s6, v4, v5
	s_and_not1_b32 s7, s7, exec_lo
	s_and_b32 s6, vcc_lo, s6
	s_delay_alu instid0(SALU_CYCLE_1) | instskip(NEXT) | instid1(SALU_CYCLE_1)
	s_and_b32 s6, s6, exec_lo
	s_or_b32 s7, s7, s6
.LBB7_162:                              ;   in Loop: Header=BB7_6 Depth=1
	s_or_b32 exec_lo, exec_lo, s49
	s_and_saveexec_b32 s6, s7
	s_cbranch_execz .LBB7_164
; %bb.163:                              ;   in Loop: Header=BB7_6 Depth=1
	v_mov_b64_e32 v[0:1], v[2:3]
	s_wait_dscnt 0x0
	v_mov_b32_e32 v4, v5
	ds_store_b64 v31, v[2:3]
	ds_store_b32 v32, v5
.LBB7_164:                              ;   in Loop: Header=BB7_6 Depth=1
	s_or_b32 exec_lo, exec_lo, s6
	ds_load_b64 v[2:3], v31 offset:8
	s_wait_dscnt 0x1
	ds_load_b32 v5, v32 offset:4
	s_wait_dscnt 0x1
	v_cmp_eq_f64_e32 vcc_lo, v[0:1], v[2:3]
	v_cmp_lt_f64_e64 s6, v[0:1], v[2:3]
	s_wait_dscnt 0x0
	v_cmp_gt_i32_e64 s7, v4, v5
	s_and_b32 s7, vcc_lo, s7
	s_delay_alu instid0(SALU_CYCLE_1) | instskip(NEXT) | instid1(SALU_CYCLE_1)
	s_or_b32 s6, s6, s7
	s_and_b32 exec_lo, exec_lo, s6
	s_cbranch_execz .LBB7_166
; %bb.165:                              ;   in Loop: Header=BB7_6 Depth=1
	ds_store_b64 v31, v[2:3]
	ds_store_b32 v32, v5
.LBB7_166:                              ;   in Loop: Header=BB7_6 Depth=1
	s_or_b32 exec_lo, exec_lo, s35
.LBB7_167:                              ;   in Loop: Header=BB7_6 Depth=1
	s_and_saveexec_b32 s6, s4
	s_cbranch_execz .LBB7_169
; %bb.168:                              ;   in Loop: Header=BB7_6 Depth=1
	ds_load_b64 v[0:1], v9 offset:3088
	ds_load_b64 v[2:3], v9
	s_wait_dscnt 0x0
	v_cmp_lt_f64_e32 vcc_lo, v[0:1], v[2:3]
	v_dual_cndmask_b32 v1, v1, v3 :: v_dual_cndmask_b32 v0, v0, v2
	ds_store_b64 v9, v[0:1] offset:3088
.LBB7_169:                              ;   in Loop: Header=BB7_6 Depth=1
	s_or_b32 exec_lo, exec_lo, s6
.LBB7_170:                              ;   in Loop: Header=BB7_6 Depth=1
	s_wait_dscnt 0x0
	s_barrier_signal -1
	s_barrier_wait -1
	ds_load_b128 v[2:5], v9 offset:3072
	ds_load_b64 v[0:1], v9 offset:3088
	s_wait_dscnt 0x0
	v_div_scale_f64 v[6:7], null, v[0:1], v[0:1], v[4:5]
	s_delay_alu instid0(VALU_DEP_1) | instskip(SKIP_1) | instid1(TRANS32_DEP_1)
	v_rcp_f64_e32 v[16:17], v[6:7]
	v_nop
	v_fma_f64 v[18:19], -v[6:7], v[16:17], 1.0
	s_delay_alu instid0(VALU_DEP_1) | instskip(NEXT) | instid1(VALU_DEP_1)
	v_fmac_f64_e32 v[16:17], v[16:17], v[18:19]
	v_fma_f64 v[18:19], -v[6:7], v[16:17], 1.0
	s_delay_alu instid0(VALU_DEP_1) | instskip(SKIP_1) | instid1(VALU_DEP_1)
	v_fmac_f64_e32 v[16:17], v[16:17], v[18:19]
	v_div_scale_f64 v[18:19], vcc_lo, v[4:5], v[0:1], v[4:5]
	v_mul_f64_e32 v[20:21], v[18:19], v[16:17]
	s_delay_alu instid0(VALU_DEP_1) | instskip(NEXT) | instid1(VALU_DEP_1)
	v_fma_f64 v[6:7], -v[6:7], v[20:21], v[18:19]
	v_div_fmas_f64 v[6:7], v[6:7], v[16:17], v[20:21]
	v_mul_f64_e32 v[16:17], 0x3fe47e0f66afed07, v[4:5]
	s_delay_alu instid0(VALU_DEP_2) | instskip(NEXT) | instid1(VALU_DEP_1)
	v_div_fixup_f64 v[4:5], v[6:7], v[0:1], v[4:5]
	v_mul_f64_e32 v[4:5], v[16:17], v[4:5]
	s_delay_alu instid0(VALU_DEP_1)
	v_cmp_ge_f64_e32 vcc_lo, v[2:3], v[4:5]
	s_cbranch_vccnz .LBB7_176
; %bb.171:                              ;   in Loop: Header=BB7_6 Depth=1
	ds_load_b32 v6, v9 offset:3096
	v_mul_f64_e32 v[0:1], 0x3fe47e0f66afed07, v[0:1]
	s_wait_dscnt 0x0
	v_add_nc_u32_e32 v2, s50, v6
	v_readfirstlane_b32 s51, v6
	global_load_b128 v[2:5], v2, s[36:37] scale_offset
	s_wait_loadcnt 0x0
	v_cmp_gt_f64_e32 vcc_lo, 0, v[2:3]
	v_xor_b32_e32 v7, 0x80000000, v3
	v_xor_b32_e32 v16, 0x80000000, v5
	s_delay_alu instid0(VALU_DEP_2) | instskip(SKIP_1) | instid1(VALU_DEP_3)
	v_cndmask_b32_e32 v3, v3, v7, vcc_lo
	v_cmp_gt_f64_e32 vcc_lo, 0, v[4:5]
	v_cndmask_b32_e32 v5, v5, v16, vcc_lo
	s_delay_alu instid0(VALU_DEP_1) | instskip(NEXT) | instid1(VALU_DEP_1)
	v_add_f64_e32 v[2:3], v[2:3], v[4:5]
	v_cmp_nge_f64_e32 vcc_lo, v[2:3], v[0:1]
	s_cbranch_vccnz .LBB7_196
; %bb.172:                              ;   in Loop: Header=BB7_6 Depth=1
	s_and_saveexec_b32 s6, s5
	s_cbranch_execz .LBB7_175
; %bb.173:                              ;   in Loop: Header=BB7_6 Depth=1
	v_dual_add_nc_u32 v0, s48, v26 :: v_dual_add_nc_u32 v2, s50, v26
	v_mov_b32_e32 v4, v26
	s_mov_b32 s5, 0
	s_delay_alu instid0(VALU_DEP_2) | instskip(NEXT) | instid1(VALU_DEP_1)
	v_dual_ashrrev_i32 v1, 31, v0 :: v_dual_ashrrev_i32 v3, 31, v2
	v_lshl_add_u64 v[0:1], v[0:1], 4, s[36:37]
	s_delay_alu instid0(VALU_DEP_2)
	v_lshl_add_u64 v[2:3], v[2:3], 4, s[36:37]
.LBB7_174:                              ;   Parent Loop BB7_6 Depth=1
                                        ; =>  This Inner Loop Header: Depth=2
	global_load_b128 v[16:19], v[2:3], off
	v_add_nc_u32_e32 v4, 0x100, v4
	s_wait_xcnt 0x0
	v_add_nc_u64_e32 v[2:3], 0x1000, v[2:3]
	s_delay_alu instid0(VALU_DEP_2)
	v_cmp_lt_i32_e32 vcc_lo, s34, v4
	s_or_b32 s5, vcc_lo, s5
	s_wait_loadcnt 0x0
	global_store_b128 v[0:1], v[16:19], off
	s_wait_xcnt 0x0
	v_add_nc_u64_e32 v[0:1], 0x1000, v[0:1]
	s_and_not1_b32 exec_lo, exec_lo, s5
	s_cbranch_execnz .LBB7_174
.LBB7_175:                              ;   in Loop: Header=BB7_6 Depth=1
	s_or_b32 exec_lo, exec_lo, s6
	s_mov_b32 s5, -1
	s_mov_b32 s35, -1
	s_wait_storecnt 0x0
	s_barrier_signal -1
	s_barrier_wait -1
	s_add_co_i32 s6, s35, s34
	s_delay_alu instid0(SALU_CYCLE_1) | instskip(NEXT) | instid1(SALU_CYCLE_1)
	s_add_co_i32 s49, s6, 1
	s_cmp_eq_u32 s51, s49
	s_cbranch_scc0 .LBB7_177
	s_branch .LBB7_192
.LBB7_176:                              ;   in Loop: Header=BB7_6 Depth=1
	s_mov_b32 s5, -1
	s_mov_b32 s35, -1
	s_mov_b32 s51, s34
	s_add_co_i32 s6, s35, s34
	s_delay_alu instid0(SALU_CYCLE_1) | instskip(NEXT) | instid1(SALU_CYCLE_1)
	s_add_co_i32 s49, s6, 1
	s_cmp_eq_u32 s51, s49
	s_cbranch_scc1 .LBB7_192
.LBB7_177:                              ;   in Loop: Header=BB7_6 Depth=1
	s_and_saveexec_b32 s7, s4
	s_cbranch_execz .LBB7_179
; %bb.178:                              ;   in Loop: Header=BB7_6 Depth=1
	s_mul_i32 s50, s49, s55
	s_delay_alu instid0(SALU_CYCLE_1) | instskip(SKIP_1) | instid1(SALU_CYCLE_1)
	v_mov_b32_e32 v0, s50
	s_mul_i32 s50, s51, s55
	v_mov_b32_e32 v4, s50
	global_load_b128 v[0:3], v0, s[10:11] scale_offset
	s_wait_loadcnt 0x0
	global_store_b128 v4, v[0:3], s[10:11] scale_offset
.LBB7_179:                              ;   in Loop: Header=BB7_6 Depth=1
	s_wait_xcnt 0x0
	s_or_b32 exec_lo, exec_lo, s7
	s_sub_co_i32 s7, s6, s51
	s_mov_b32 s50, exec_lo
	v_cmpx_gt_i32_e64 s7, v26
	s_cbranch_execz .LBB7_182
; %bb.180:                              ;   in Loop: Header=BB7_6 Depth=1
	v_dual_mov_b32 v1, v26 :: v_dual_add_nc_u32 v0, s51, v27
	s_mul_i32 s52, s49, s21
	s_mov_b32 s53, 0
	s_add_co_i32 s52, s51, s52
	s_delay_alu instid0(VALU_DEP_1)
	v_mad_u32 v0, s21, v0, s51
	s_add_co_i32 s52, s52, 1
.LBB7_181:                              ;   Parent Loop BB7_6 Depth=1
                                        ; =>  This Inner Loop Header: Depth=2
	s_delay_alu instid0(SALU_CYCLE_1)
	v_add_nc_u32_e32 v2, s52, v1
	v_add_nc_u32_e32 v1, 0x100, v1
	global_load_b128 v[2:5], v2, s[10:11] scale_offset
	v_cmp_le_i32_e32 vcc_lo, s7, v1
	s_or_b32 s53, vcc_lo, s53
	s_wait_loadcnt 0x0
	global_store_b128 v0, v[2:5], s[10:11] scale_offset
	s_wait_xcnt 0x0
	v_add_nc_u32_e32 v0, s57, v0
	s_and_not1_b32 exec_lo, exec_lo, s53
	s_cbranch_execnz .LBB7_181
.LBB7_182:                              ;   in Loop: Header=BB7_6 Depth=1
	s_or_b32 exec_lo, exec_lo, s50
	s_delay_alu instid0(SALU_CYCLE_1)
	s_mov_b32 s7, exec_lo
	v_cmpx_gt_i32_e64 s51, v26
	s_cbranch_execz .LBB7_185
; %bb.183:                              ;   in Loop: Header=BB7_6 Depth=1
	v_mad_u32 v0, s51, s21, v26
	v_mad_u32 v2, s49, s21, v26
	v_mov_b32_e32 v4, v26
	s_mov_b32 s50, 0
	s_delay_alu instid0(VALU_DEP_2) | instskip(NEXT) | instid1(VALU_DEP_1)
	v_dual_ashrrev_i32 v1, 31, v0 :: v_dual_ashrrev_i32 v3, 31, v2
	v_lshl_add_u64 v[0:1], v[0:1], 4, s[38:39]
	s_delay_alu instid0(VALU_DEP_2)
	v_lshl_add_u64 v[2:3], v[2:3], 4, s[38:39]
.LBB7_184:                              ;   Parent Loop BB7_6 Depth=1
                                        ; =>  This Inner Loop Header: Depth=2
	global_load_b128 v[16:19], v[2:3], off
	v_add_nc_u32_e32 v4, 0x100, v4
	s_wait_xcnt 0x0
	v_add_nc_u64_e32 v[2:3], 0x1000, v[2:3]
	s_delay_alu instid0(VALU_DEP_2)
	v_cmp_le_i32_e32 vcc_lo, s51, v4
	s_or_b32 s50, vcc_lo, s50
	s_wait_loadcnt 0x0
	global_store_b128 v[0:1], v[16:19], off
	s_wait_xcnt 0x0
	v_add_nc_u64_e32 v[0:1], 0x1000, v[0:1]
	s_and_not1_b32 exec_lo, exec_lo, s50
	s_cbranch_execnz .LBB7_184
.LBB7_185:                              ;   in Loop: Header=BB7_6 Depth=1
	s_or_b32 exec_lo, exec_lo, s7
	s_not_b32 s7, s34
	s_mov_b32 s52, exec_lo
	s_add_co_i32 s50, s22, s7
	s_wait_storecnt 0x0
	s_barrier_signal -1
	s_barrier_wait -1
	v_cmpx_gt_i32_e64 s50, v26
	s_cbranch_execz .LBB7_188
; %bb.186:                              ;   in Loop: Header=BB7_6 Depth=1
	v_dual_add_nc_u32 v0, s34, v27 :: v_dual_mov_b32 v2, v26
	s_ashr_i32 s7, s6, 31
	s_mov_b32 s53, 0
	s_delay_alu instid0(VALU_DEP_1)
	v_mul_lo_u32 v0, s21, v0
.LBB7_187:                              ;   Parent Loop BB7_6 Depth=1
                                        ; =>  This Inner Loop Header: Depth=2
	s_delay_alu instid0(VALU_DEP_1) | instskip(SKIP_1) | instid1(VALU_DEP_2)
	v_ashrrev_i32_e32 v1, 31, v0
	v_add_nc_u32_e32 v2, 0x100, v2
	v_add_nc_u64_e32 v[4:5], s[6:7], v[0:1]
	v_add_nc_u32_e32 v1, s51, v0
	s_delay_alu instid0(VALU_DEP_3) | instskip(SKIP_2) | instid1(VALU_DEP_4)
	v_cmp_le_i32_e32 vcc_lo, s50, v2
	v_add_nc_u32_e32 v0, s57, v0
	s_or_b32 s53, vcc_lo, s53
	v_lshl_add_u64 v[20:21], v[4:5], 4, s[10:11]
	s_clause 0x1
	global_load_b128 v[4:7], v[20:21], off offset:16
	global_load_b128 v[16:19], v1, s[10:11] scale_offset
	s_wait_loadcnt 0x1
	ds_store_2addr_b64 v30, v[4:5], v[6:7] offset1:1
	s_wait_loadcnt 0x0
	s_clause 0x1
	global_store_b128 v[20:21], v[16:19], off offset:16
	global_store_b128 v1, v[4:7], s[10:11] scale_offset
	s_wait_xcnt 0x0
	s_and_not1_b32 exec_lo, exec_lo, s53
	s_cbranch_execnz .LBB7_187
.LBB7_188:                              ;   in Loop: Header=BB7_6 Depth=1
	s_or_b32 exec_lo, exec_lo, s52
	s_sub_co_i32 s49, s22, s49
	s_mov_b32 s50, exec_lo
	v_cmpx_gt_i32_e64 s49, v26
	s_cbranch_execz .LBB7_191
; %bb.189:                              ;   in Loop: Header=BB7_6 Depth=1
	v_add3_u32 v0, s34, s35, v33
	v_mov_b32_e32 v2, v26
	s_ashr_i32 s7, s6, 31
	s_mov_b32 s35, 0
	s_delay_alu instid0(VALU_DEP_2)
	v_mul_lo_u32 v0, s22, v0
.LBB7_190:                              ;   Parent Loop BB7_6 Depth=1
                                        ; =>  This Inner Loop Header: Depth=2
	s_delay_alu instid0(VALU_DEP_1) | instskip(SKIP_1) | instid1(VALU_DEP_2)
	v_ashrrev_i32_e32 v1, 31, v0
	v_add_nc_u32_e32 v2, 0x100, v2
	v_add_nc_u64_e32 v[4:5], s[6:7], v[0:1]
	v_add_nc_u32_e32 v1, s51, v0
	s_delay_alu instid0(VALU_DEP_3) | instskip(SKIP_2) | instid1(VALU_DEP_4)
	v_cmp_le_i32_e32 vcc_lo, s49, v2
	v_add_nc_u32_e32 v0, s58, v0
	s_or_b32 s35, vcc_lo, s35
	v_lshl_add_u64 v[20:21], v[4:5], 4, s[36:37]
	s_clause 0x1
	global_load_b128 v[4:7], v[20:21], off offset:16
	global_load_b128 v[16:19], v1, s[36:37] scale_offset
	s_wait_loadcnt 0x1
	ds_store_2addr_b64 v29, v[4:5], v[6:7] offset1:1
	s_wait_loadcnt 0x0
	s_clause 0x1
	global_store_b128 v[20:21], v[16:19], off offset:16
	global_store_b128 v1, v[4:7], s[36:37] scale_offset
	s_wait_xcnt 0x0
	s_and_not1_b32 exec_lo, exec_lo, s35
	s_cbranch_execnz .LBB7_190
.LBB7_191:                              ;   in Loop: Header=BB7_6 Depth=1
	s_or_b32 exec_lo, exec_lo, s50
	s_wait_storecnt_dscnt 0x0
	s_barrier_signal -1
	s_barrier_wait -1
.LBB7_192:                              ;   in Loop: Header=BB7_6 Depth=1
	s_xor_b32 s5, s5, -1
	s_mov_b32 s6, -1
	s_and_b32 vcc_lo, exec_lo, s5
	s_cbranch_vccz .LBB7_214
; %bb.193:                              ;   in Loop: Header=BB7_6 Depth=1
	s_cmp_lt_i32 s34, 2
	s_cbranch_scc1 .LBB7_211
; %bb.194:                              ;   in Loop: Header=BB7_6 Depth=1
	s_ashr_i32 s49, s48, 31
	s_ashr_i32 s35, s34, 31
	s_add_co_i32 s5, s48, s34
	s_add_nc_u64 s[6:7], s[48:49], s[34:35]
	v_mov_b32_e32 v4, s5
	s_lshl_b64 s[6:7], s[6:7], 4
	s_delay_alu instid0(SALU_CYCLE_1)
	s_add_nc_u64 s[6:7], s[36:37], s[6:7]
	s_clause 0x1
	global_load_b128 v[0:3], v9, s[6:7] offset:-16
	global_load_b128 v[4:7], v4, s[36:37] scale_offset
	s_wait_loadcnt 0x1
	v_cmp_ngt_f64_e64 s5, |v[0:1]|, |v[2:3]|
	s_and_b32 vcc_lo, exec_lo, s5
	s_cbranch_vccz .LBB7_197
; %bb.195:                              ;   in Loop: Header=BB7_6 Depth=1
	v_div_scale_f64 v[16:17], null, v[2:3], v[2:3], v[0:1]
	v_div_scale_f64 v[22:23], vcc_lo, v[0:1], v[2:3], v[0:1]
	s_delay_alu instid0(VALU_DEP_2) | instskip(SKIP_1) | instid1(TRANS32_DEP_1)
	v_rcp_f64_e32 v[18:19], v[16:17]
	v_nop
	v_fma_f64 v[20:21], -v[16:17], v[18:19], 1.0
	s_delay_alu instid0(VALU_DEP_1) | instskip(NEXT) | instid1(VALU_DEP_1)
	v_fmac_f64_e32 v[18:19], v[18:19], v[20:21]
	v_fma_f64 v[20:21], -v[16:17], v[18:19], 1.0
	s_delay_alu instid0(VALU_DEP_1) | instskip(NEXT) | instid1(VALU_DEP_1)
	v_fmac_f64_e32 v[18:19], v[18:19], v[20:21]
	v_mul_f64_e32 v[20:21], v[22:23], v[18:19]
	s_delay_alu instid0(VALU_DEP_1) | instskip(NEXT) | instid1(VALU_DEP_1)
	v_fma_f64 v[16:17], -v[16:17], v[20:21], v[22:23]
	v_div_fmas_f64 v[16:17], v[16:17], v[18:19], v[20:21]
	s_delay_alu instid0(VALU_DEP_1) | instskip(NEXT) | instid1(VALU_DEP_1)
	v_div_fixup_f64 v[16:17], v[16:17], v[2:3], v[0:1]
	v_fma_f64 v[18:19], v[0:1], v[16:17], v[2:3]
	s_delay_alu instid0(VALU_DEP_1) | instskip(SKIP_1) | instid1(VALU_DEP_2)
	v_div_scale_f64 v[20:21], null, v[18:19], v[18:19], 1.0
	v_div_scale_f64 v[34:35], vcc_lo, 1.0, v[18:19], 1.0
	v_rcp_f64_e32 v[22:23], v[20:21]
	v_nop
	s_delay_alu instid0(TRANS32_DEP_1) | instskip(NEXT) | instid1(VALU_DEP_1)
	v_fma_f64 v[24:25], -v[20:21], v[22:23], 1.0
	v_fmac_f64_e32 v[22:23], v[22:23], v[24:25]
	s_delay_alu instid0(VALU_DEP_1) | instskip(NEXT) | instid1(VALU_DEP_1)
	v_fma_f64 v[24:25], -v[20:21], v[22:23], 1.0
	v_fmac_f64_e32 v[22:23], v[22:23], v[24:25]
	s_delay_alu instid0(VALU_DEP_1) | instskip(NEXT) | instid1(VALU_DEP_1)
	v_mul_f64_e32 v[24:25], v[34:35], v[22:23]
	v_fma_f64 v[20:21], -v[20:21], v[24:25], v[34:35]
	s_delay_alu instid0(VALU_DEP_1) | instskip(SKIP_2) | instid1(VALU_DEP_2)
	v_div_fmas_f64 v[20:21], v[20:21], v[22:23], v[24:25]
	s_wait_loadcnt 0x0
	v_fma_f64 v[22:23], v[16:17], v[4:5], v[6:7]
	v_div_fixup_f64 v[18:19], v[20:21], v[18:19], 1.0
	v_fma_f64 v[20:21], v[16:17], v[6:7], -v[4:5]
	s_delay_alu instid0(VALU_DEP_2) | instskip(NEXT) | instid1(VALU_DEP_2)
	v_mul_f64_e32 v[16:17], v[22:23], v[18:19]
	v_mul_f64_e32 v[18:19], v[18:19], v[20:21]
	s_cbranch_execz .LBB7_198
	s_branch .LBB7_199
.LBB7_196:                              ;   in Loop: Header=BB7_6 Depth=1
	s_mov_b32 s5, 0
	s_mov_b32 s35, -2
	s_delay_alu instid0(SALU_CYCLE_1) | instskip(NEXT) | instid1(SALU_CYCLE_1)
	s_add_co_i32 s6, s35, s34
	s_add_co_i32 s49, s6, 1
	s_delay_alu instid0(SALU_CYCLE_1)
	s_cmp_eq_u32 s51, s49
	s_cbranch_scc0 .LBB7_177
	s_branch .LBB7_192
.LBB7_197:                              ;   in Loop: Header=BB7_6 Depth=1
                                        ; implicit-def: $vgpr16_vgpr17
                                        ; implicit-def: $vgpr18_vgpr19
.LBB7_198:                              ;   in Loop: Header=BB7_6 Depth=1
	v_div_scale_f64 v[16:17], null, v[0:1], v[0:1], v[2:3]
	v_div_scale_f64 v[22:23], vcc_lo, v[2:3], v[0:1], v[2:3]
	s_delay_alu instid0(VALU_DEP_2) | instskip(SKIP_1) | instid1(TRANS32_DEP_1)
	v_rcp_f64_e32 v[18:19], v[16:17]
	v_nop
	v_fma_f64 v[20:21], -v[16:17], v[18:19], 1.0
	s_delay_alu instid0(VALU_DEP_1) | instskip(NEXT) | instid1(VALU_DEP_1)
	v_fmac_f64_e32 v[18:19], v[18:19], v[20:21]
	v_fma_f64 v[20:21], -v[16:17], v[18:19], 1.0
	s_delay_alu instid0(VALU_DEP_1) | instskip(NEXT) | instid1(VALU_DEP_1)
	v_fmac_f64_e32 v[18:19], v[18:19], v[20:21]
	v_mul_f64_e32 v[20:21], v[22:23], v[18:19]
	s_delay_alu instid0(VALU_DEP_1) | instskip(NEXT) | instid1(VALU_DEP_1)
	v_fma_f64 v[16:17], -v[16:17], v[20:21], v[22:23]
	v_div_fmas_f64 v[16:17], v[16:17], v[18:19], v[20:21]
	s_delay_alu instid0(VALU_DEP_1) | instskip(NEXT) | instid1(VALU_DEP_1)
	v_div_fixup_f64 v[16:17], v[16:17], v[0:1], v[2:3]
	v_fma_f64 v[18:19], v[2:3], v[16:17], v[0:1]
	s_delay_alu instid0(VALU_DEP_1) | instskip(SKIP_1) | instid1(VALU_DEP_2)
	v_div_scale_f64 v[20:21], null, v[18:19], v[18:19], 1.0
	v_div_scale_f64 v[34:35], vcc_lo, 1.0, v[18:19], 1.0
	v_rcp_f64_e32 v[22:23], v[20:21]
	v_nop
	s_delay_alu instid0(TRANS32_DEP_1) | instskip(NEXT) | instid1(VALU_DEP_1)
	v_fma_f64 v[24:25], -v[20:21], v[22:23], 1.0
	v_fmac_f64_e32 v[22:23], v[22:23], v[24:25]
	s_delay_alu instid0(VALU_DEP_1) | instskip(NEXT) | instid1(VALU_DEP_1)
	v_fma_f64 v[24:25], -v[20:21], v[22:23], 1.0
	v_fmac_f64_e32 v[22:23], v[22:23], v[24:25]
	s_delay_alu instid0(VALU_DEP_1) | instskip(NEXT) | instid1(VALU_DEP_1)
	v_mul_f64_e32 v[24:25], v[34:35], v[22:23]
	v_fma_f64 v[20:21], -v[20:21], v[24:25], v[34:35]
	s_delay_alu instid0(VALU_DEP_1) | instskip(SKIP_3) | instid1(VALU_DEP_3)
	v_div_fmas_f64 v[20:21], v[20:21], v[22:23], v[24:25]
	s_wait_loadcnt 0x0
	v_fma_f64 v[22:23], v[16:17], v[6:7], v[4:5]
	v_fma_f64 v[4:5], -v[16:17], v[4:5], v[6:7]
	v_div_fixup_f64 v[18:19], v[20:21], v[18:19], 1.0
	s_delay_alu instid0(VALU_DEP_1) | instskip(NEXT) | instid1(VALU_DEP_3)
	v_mul_f64_e32 v[16:17], v[18:19], v[22:23]
	v_mul_f64_e32 v[18:19], v[4:5], v[18:19]
.LBB7_199:                              ;   in Loop: Header=BB7_6 Depth=1
	s_add_co_i32 s6, s61, -1
	s_and_b32 vcc_lo, exec_lo, s5
	s_mul_i32 s6, s6, s22
	s_delay_alu instid0(SALU_CYCLE_1) | instskip(NEXT) | instid1(SALU_CYCLE_1)
	s_ashr_i32 s7, s6, 31
	s_add_nc_u64 s[52:53], s[6:7], s[34:35]
	s_delay_alu instid0(SALU_CYCLE_1) | instskip(NEXT) | instid1(SALU_CYCLE_1)
	s_lshl_b64 s[52:53], s[52:53], 4
	s_add_nc_u64 s[52:53], s[36:37], s[52:53]
	s_wait_loadcnt 0x0
	global_load_b128 v[4:7], v9, s[52:53] offset:-16
	s_cbranch_vccz .LBB7_201
; %bb.200:                              ;   in Loop: Header=BB7_6 Depth=1
	v_div_scale_f64 v[20:21], null, v[2:3], v[2:3], v[0:1]
	v_div_scale_f64 v[34:35], vcc_lo, v[0:1], v[2:3], v[0:1]
	s_delay_alu instid0(VALU_DEP_2) | instskip(SKIP_1) | instid1(TRANS32_DEP_1)
	v_rcp_f64_e32 v[22:23], v[20:21]
	v_nop
	v_fma_f64 v[24:25], -v[20:21], v[22:23], 1.0
	s_delay_alu instid0(VALU_DEP_1) | instskip(NEXT) | instid1(VALU_DEP_1)
	v_fmac_f64_e32 v[22:23], v[22:23], v[24:25]
	v_fma_f64 v[24:25], -v[20:21], v[22:23], 1.0
	s_delay_alu instid0(VALU_DEP_1) | instskip(NEXT) | instid1(VALU_DEP_1)
	v_fmac_f64_e32 v[22:23], v[22:23], v[24:25]
	v_mul_f64_e32 v[24:25], v[34:35], v[22:23]
	s_delay_alu instid0(VALU_DEP_1) | instskip(NEXT) | instid1(VALU_DEP_1)
	v_fma_f64 v[20:21], -v[20:21], v[24:25], v[34:35]
	v_div_fmas_f64 v[20:21], v[20:21], v[22:23], v[24:25]
	s_delay_alu instid0(VALU_DEP_1) | instskip(NEXT) | instid1(VALU_DEP_1)
	v_div_fixup_f64 v[20:21], v[20:21], v[2:3], v[0:1]
	v_fma_f64 v[22:23], v[0:1], v[20:21], v[2:3]
	s_delay_alu instid0(VALU_DEP_1) | instskip(SKIP_1) | instid1(VALU_DEP_2)
	v_div_scale_f64 v[24:25], null, v[22:23], v[22:23], 1.0
	v_div_scale_f64 v[38:39], vcc_lo, 1.0, v[22:23], 1.0
	v_rcp_f64_e32 v[34:35], v[24:25]
	v_nop
	s_delay_alu instid0(TRANS32_DEP_1) | instskip(NEXT) | instid1(VALU_DEP_1)
	v_fma_f64 v[36:37], -v[24:25], v[34:35], 1.0
	v_fmac_f64_e32 v[34:35], v[34:35], v[36:37]
	s_delay_alu instid0(VALU_DEP_1) | instskip(NEXT) | instid1(VALU_DEP_1)
	v_fma_f64 v[36:37], -v[24:25], v[34:35], 1.0
	v_fmac_f64_e32 v[34:35], v[34:35], v[36:37]
	s_delay_alu instid0(VALU_DEP_1) | instskip(NEXT) | instid1(VALU_DEP_1)
	v_mul_f64_e32 v[36:37], v[38:39], v[34:35]
	v_fma_f64 v[24:25], -v[24:25], v[36:37], v[38:39]
	s_delay_alu instid0(VALU_DEP_1) | instskip(SKIP_2) | instid1(VALU_DEP_2)
	v_div_fmas_f64 v[24:25], v[24:25], v[34:35], v[36:37]
	s_wait_loadcnt 0x0
	v_fma_f64 v[34:35], v[20:21], v[4:5], v[6:7]
	v_div_fixup_f64 v[22:23], v[24:25], v[22:23], 1.0
	v_fma_f64 v[24:25], v[20:21], v[6:7], -v[4:5]
	s_delay_alu instid0(VALU_DEP_2) | instskip(NEXT) | instid1(VALU_DEP_2)
	v_mul_f64_e32 v[20:21], v[22:23], v[34:35]
	v_mul_f64_e32 v[22:23], v[22:23], v[24:25]
	s_cbranch_execz .LBB7_202
	s_branch .LBB7_203
.LBB7_201:                              ;   in Loop: Header=BB7_6 Depth=1
                                        ; implicit-def: $vgpr20_vgpr21
                                        ; implicit-def: $vgpr22_vgpr23
.LBB7_202:                              ;   in Loop: Header=BB7_6 Depth=1
	v_div_scale_f64 v[20:21], null, v[0:1], v[0:1], v[2:3]
	v_div_scale_f64 v[34:35], vcc_lo, v[2:3], v[0:1], v[2:3]
	s_delay_alu instid0(VALU_DEP_2) | instskip(SKIP_1) | instid1(TRANS32_DEP_1)
	v_rcp_f64_e32 v[22:23], v[20:21]
	v_nop
	v_fma_f64 v[24:25], -v[20:21], v[22:23], 1.0
	s_delay_alu instid0(VALU_DEP_1) | instskip(NEXT) | instid1(VALU_DEP_1)
	v_fmac_f64_e32 v[22:23], v[22:23], v[24:25]
	v_fma_f64 v[24:25], -v[20:21], v[22:23], 1.0
	s_delay_alu instid0(VALU_DEP_1) | instskip(NEXT) | instid1(VALU_DEP_1)
	v_fmac_f64_e32 v[22:23], v[22:23], v[24:25]
	v_mul_f64_e32 v[24:25], v[34:35], v[22:23]
	s_delay_alu instid0(VALU_DEP_1) | instskip(NEXT) | instid1(VALU_DEP_1)
	v_fma_f64 v[20:21], -v[20:21], v[24:25], v[34:35]
	v_div_fmas_f64 v[20:21], v[20:21], v[22:23], v[24:25]
	s_delay_alu instid0(VALU_DEP_1) | instskip(NEXT) | instid1(VALU_DEP_1)
	v_div_fixup_f64 v[20:21], v[20:21], v[0:1], v[2:3]
	v_fma_f64 v[22:23], v[2:3], v[20:21], v[0:1]
	s_delay_alu instid0(VALU_DEP_1) | instskip(SKIP_1) | instid1(VALU_DEP_2)
	v_div_scale_f64 v[24:25], null, v[22:23], v[22:23], 1.0
	v_div_scale_f64 v[38:39], vcc_lo, 1.0, v[22:23], 1.0
	v_rcp_f64_e32 v[34:35], v[24:25]
	v_nop
	s_delay_alu instid0(TRANS32_DEP_1) | instskip(NEXT) | instid1(VALU_DEP_1)
	v_fma_f64 v[36:37], -v[24:25], v[34:35], 1.0
	v_fmac_f64_e32 v[34:35], v[34:35], v[36:37]
	s_delay_alu instid0(VALU_DEP_1) | instskip(NEXT) | instid1(VALU_DEP_1)
	v_fma_f64 v[36:37], -v[24:25], v[34:35], 1.0
	v_fmac_f64_e32 v[34:35], v[34:35], v[36:37]
	s_delay_alu instid0(VALU_DEP_1) | instskip(NEXT) | instid1(VALU_DEP_1)
	v_mul_f64_e32 v[36:37], v[38:39], v[34:35]
	v_fma_f64 v[24:25], -v[24:25], v[36:37], v[38:39]
	s_delay_alu instid0(VALU_DEP_1) | instskip(SKIP_3) | instid1(VALU_DEP_3)
	v_div_fmas_f64 v[24:25], v[24:25], v[34:35], v[36:37]
	s_wait_loadcnt 0x0
	v_fma_f64 v[34:35], v[20:21], v[6:7], v[4:5]
	v_fma_f64 v[4:5], -v[20:21], v[4:5], v[6:7]
	v_div_fixup_f64 v[22:23], v[24:25], v[22:23], 1.0
	s_delay_alu instid0(VALU_DEP_1) | instskip(NEXT) | instid1(VALU_DEP_3)
	v_mul_f64_e32 v[20:21], v[22:23], v[34:35]
	v_mul_f64_e32 v[22:23], v[22:23], v[4:5]
.LBB7_203:                              ;   in Loop: Header=BB7_6 Depth=1
	s_wait_loadcnt 0x0
	s_delay_alu instid0(VALU_DEP_1) | instskip(NEXT) | instid1(VALU_DEP_3)
	v_mul_f64_e32 v[4:5], v[18:19], v[22:23]
	v_mul_f64_e32 v[24:25], v[18:19], v[20:21]
	s_delay_alu instid0(VALU_DEP_2) | instskip(NEXT) | instid1(VALU_DEP_2)
	v_fma_f64 v[4:5], v[16:17], v[20:21], -v[4:5]
	v_fmac_f64_e32 v[24:25], v[16:17], v[22:23]
	s_delay_alu instid0(VALU_DEP_2) | instskip(NEXT) | instid1(VALU_DEP_2)
	v_add_f64_e32 v[4:5], -1.0, v[4:5]
	v_mul_f64_e32 v[34:35], v[2:3], v[24:25]
	s_delay_alu instid0(VALU_DEP_2) | instskip(NEXT) | instid1(VALU_DEP_2)
	v_mul_f64_e32 v[6:7], v[2:3], v[4:5]
	v_fma_f64 v[4:5], v[0:1], v[4:5], -v[34:35]
	s_delay_alu instid0(VALU_DEP_2) | instskip(NEXT) | instid1(VALU_DEP_1)
	v_fmac_f64_e32 v[6:7], v[0:1], v[24:25]
	v_cmp_ngt_f64_e64 s5, |v[4:5]|, |v[6:7]|
	s_and_b32 vcc_lo, exec_lo, s5
	s_cbranch_vccz .LBB7_205
; %bb.204:                              ;   in Loop: Header=BB7_6 Depth=1
	v_div_scale_f64 v[0:1], null, v[6:7], v[6:7], v[4:5]
	v_div_scale_f64 v[34:35], vcc_lo, v[4:5], v[6:7], v[4:5]
	s_delay_alu instid0(VALU_DEP_2) | instskip(SKIP_1) | instid1(TRANS32_DEP_1)
	v_rcp_f64_e32 v[2:3], v[0:1]
	v_nop
	v_fma_f64 v[24:25], -v[0:1], v[2:3], 1.0
	s_delay_alu instid0(VALU_DEP_1) | instskip(NEXT) | instid1(VALU_DEP_1)
	v_fmac_f64_e32 v[2:3], v[2:3], v[24:25]
	v_fma_f64 v[24:25], -v[0:1], v[2:3], 1.0
	s_delay_alu instid0(VALU_DEP_1) | instskip(NEXT) | instid1(VALU_DEP_1)
	v_fmac_f64_e32 v[2:3], v[2:3], v[24:25]
	v_mul_f64_e32 v[24:25], v[34:35], v[2:3]
	s_delay_alu instid0(VALU_DEP_1) | instskip(NEXT) | instid1(VALU_DEP_1)
	v_fma_f64 v[0:1], -v[0:1], v[24:25], v[34:35]
	v_div_fmas_f64 v[0:1], v[0:1], v[2:3], v[24:25]
	s_delay_alu instid0(VALU_DEP_1) | instskip(NEXT) | instid1(VALU_DEP_1)
	v_div_fixup_f64 v[0:1], v[0:1], v[6:7], v[4:5]
	v_fma_f64 v[2:3], v[4:5], v[0:1], v[6:7]
	s_delay_alu instid0(VALU_DEP_1) | instskip(SKIP_1) | instid1(VALU_DEP_2)
	v_div_scale_f64 v[24:25], null, v[2:3], v[2:3], 1.0
	v_div_scale_f64 v[38:39], vcc_lo, 1.0, v[2:3], 1.0
	v_rcp_f64_e32 v[34:35], v[24:25]
	v_nop
	s_delay_alu instid0(TRANS32_DEP_1) | instskip(NEXT) | instid1(VALU_DEP_1)
	v_fma_f64 v[36:37], -v[24:25], v[34:35], 1.0
	v_fmac_f64_e32 v[34:35], v[34:35], v[36:37]
	s_delay_alu instid0(VALU_DEP_1) | instskip(NEXT) | instid1(VALU_DEP_1)
	v_fma_f64 v[36:37], -v[24:25], v[34:35], 1.0
	v_fmac_f64_e32 v[34:35], v[34:35], v[36:37]
	s_delay_alu instid0(VALU_DEP_1) | instskip(NEXT) | instid1(VALU_DEP_1)
	v_mul_f64_e32 v[36:37], v[38:39], v[34:35]
	v_fma_f64 v[24:25], -v[24:25], v[36:37], v[38:39]
	s_delay_alu instid0(VALU_DEP_1) | instskip(SKIP_1) | instid1(VALU_DEP_2)
	v_div_fmas_f64 v[24:25], v[24:25], v[34:35], v[36:37]
	v_add_f64_e32 v[34:35], 0, v[0:1]
	v_div_fixup_f64 v[2:3], v[24:25], v[2:3], 1.0
	v_fma_f64 v[24:25], v[0:1], 0, -1.0
	s_delay_alu instid0(VALU_DEP_2) | instskip(NEXT) | instid1(VALU_DEP_2)
	v_mul_f64_e32 v[0:1], v[34:35], v[2:3]
	v_mul_f64_e32 v[2:3], v[24:25], v[2:3]
	s_cbranch_execz .LBB7_206
	s_branch .LBB7_207
.LBB7_205:                              ;   in Loop: Header=BB7_6 Depth=1
                                        ; implicit-def: $vgpr0_vgpr1
                                        ; implicit-def: $vgpr2_vgpr3
.LBB7_206:                              ;   in Loop: Header=BB7_6 Depth=1
	v_div_scale_f64 v[0:1], null, v[4:5], v[4:5], v[6:7]
	v_div_scale_f64 v[34:35], vcc_lo, v[6:7], v[4:5], v[6:7]
	s_delay_alu instid0(VALU_DEP_2) | instskip(SKIP_1) | instid1(TRANS32_DEP_1)
	v_rcp_f64_e32 v[2:3], v[0:1]
	v_nop
	v_fma_f64 v[24:25], -v[0:1], v[2:3], 1.0
	s_delay_alu instid0(VALU_DEP_1) | instskip(NEXT) | instid1(VALU_DEP_1)
	v_fmac_f64_e32 v[2:3], v[2:3], v[24:25]
	v_fma_f64 v[24:25], -v[0:1], v[2:3], 1.0
	s_delay_alu instid0(VALU_DEP_1) | instskip(NEXT) | instid1(VALU_DEP_1)
	v_fmac_f64_e32 v[2:3], v[2:3], v[24:25]
	v_mul_f64_e32 v[24:25], v[34:35], v[2:3]
	s_delay_alu instid0(VALU_DEP_1) | instskip(NEXT) | instid1(VALU_DEP_1)
	v_fma_f64 v[0:1], -v[0:1], v[24:25], v[34:35]
	v_div_fmas_f64 v[0:1], v[0:1], v[2:3], v[24:25]
	s_delay_alu instid0(VALU_DEP_1) | instskip(NEXT) | instid1(VALU_DEP_1)
	v_div_fixup_f64 v[0:1], v[0:1], v[4:5], v[6:7]
	v_fmac_f64_e32 v[4:5], v[6:7], v[0:1]
	s_delay_alu instid0(VALU_DEP_1) | instskip(SKIP_1) | instid1(VALU_DEP_2)
	v_div_scale_f64 v[2:3], null, v[4:5], v[4:5], 1.0
	v_div_scale_f64 v[34:35], vcc_lo, 1.0, v[4:5], 1.0
	v_rcp_f64_e32 v[6:7], v[2:3]
	v_nop
	s_delay_alu instid0(TRANS32_DEP_1) | instskip(NEXT) | instid1(VALU_DEP_1)
	v_fma_f64 v[24:25], -v[2:3], v[6:7], 1.0
	v_fmac_f64_e32 v[6:7], v[6:7], v[24:25]
	s_delay_alu instid0(VALU_DEP_1) | instskip(NEXT) | instid1(VALU_DEP_1)
	v_fma_f64 v[24:25], -v[2:3], v[6:7], 1.0
	v_fmac_f64_e32 v[6:7], v[6:7], v[24:25]
	s_delay_alu instid0(VALU_DEP_1) | instskip(NEXT) | instid1(VALU_DEP_1)
	v_mul_f64_e32 v[24:25], v[34:35], v[6:7]
	v_fma_f64 v[2:3], -v[2:3], v[24:25], v[34:35]
	s_delay_alu instid0(VALU_DEP_1) | instskip(SKIP_1) | instid1(VALU_DEP_2)
	v_div_fmas_f64 v[2:3], v[2:3], v[6:7], v[24:25]
	v_fma_f64 v[6:7], v[0:1], 0, 1.0
	v_div_fixup_f64 v[2:3], v[2:3], v[4:5], 1.0
	v_add_f64_e64 v[4:5], -v[0:1], 0
	s_delay_alu instid0(VALU_DEP_2) | instskip(NEXT) | instid1(VALU_DEP_2)
	v_mul_f64_e32 v[0:1], v[6:7], v[2:3]
	v_mul_f64_e32 v[2:3], v[4:5], v[2:3]
.LBB7_207:                              ;   in Loop: Header=BB7_6 Depth=1
	s_add_co_i32 s5, s34, -2
	s_mov_b32 s7, exec_lo
	v_cmpx_ge_i32_e64 s5, v26
	s_cbranch_execz .LBB7_210
; %bb.208:                              ;   in Loop: Header=BB7_6 Depth=1
	s_add_co_i32 s35, s34, -1
	v_dual_add_nc_u32 v4, s6, v26 :: v_dual_add_nc_u32 v6, s48, v26
	v_mad_u32 v24, s35, s21, v26
	s_mul_i32 s6, s34, s21
	s_mov_b32 s35, 0
	s_delay_alu instid0(VALU_DEP_2) | instskip(SKIP_1) | instid1(VALU_DEP_2)
	v_dual_ashrrev_i32 v5, 31, v4 :: v_dual_ashrrev_i32 v7, 31, v6
	v_mov_b32_e32 v34, v26
	v_lshl_add_u64 v[4:5], v[4:5], 4, s[42:43]
	s_delay_alu instid0(VALU_DEP_3) | instskip(SKIP_1) | instid1(VALU_DEP_1)
	v_lshl_add_u64 v[6:7], v[6:7], 4, s[42:43]
	v_ashrrev_i32_e32 v25, 31, v24
	v_lshl_add_u64 v[24:25], v[24:25], 4, s[46:47]
.LBB7_209:                              ;   Parent Loop BB7_6 Depth=1
                                        ; =>  This Inner Loop Header: Depth=2
	global_load_b128 v[36:39], v[4:5], off offset:-8
	global_load_b128 v[40:43], v[6:7], off offset:-8
	v_add_nc_u32_e32 v35, s6, v34
	v_add_nc_u32_e32 v34, 0x100, v34
	s_delay_alu instid0(VALU_DEP_1) | instskip(SKIP_4) | instid1(VALU_DEP_2)
	v_cmp_lt_i32_e32 vcc_lo, s5, v34
	s_or_b32 s35, vcc_lo, s35
	s_wait_loadcnt 0x1
	v_mul_f64_e32 v[44:45], v[16:17], v[38:39]
	v_mul_f64_e32 v[38:39], v[18:19], v[38:39]
	v_fmac_f64_e32 v[44:45], v[18:19], v[36:37]
	s_delay_alu instid0(VALU_DEP_2) | instskip(SKIP_1) | instid1(VALU_DEP_2)
	v_fma_f64 v[36:37], v[16:17], v[36:37], -v[38:39]
	s_wait_loadcnt 0x0
	v_add_f64_e64 v[42:43], v[44:45], -v[42:43]
	s_delay_alu instid0(VALU_DEP_2) | instskip(NEXT) | instid1(VALU_DEP_2)
	v_add_f64_e64 v[36:37], v[36:37], -v[40:41]
	v_mul_f64_e32 v[40:41], v[2:3], v[42:43]
	s_delay_alu instid0(VALU_DEP_2) | instskip(NEXT) | instid1(VALU_DEP_2)
	v_mul_f64_e32 v[38:39], v[2:3], v[36:37]
	v_fma_f64 v[36:37], v[0:1], v[36:37], -v[40:41]
	s_delay_alu instid0(VALU_DEP_2)
	v_fmac_f64_e32 v[38:39], v[0:1], v[42:43]
	global_store_b128 v[24:25], v[36:39], off offset:-8
	global_load_b128 v[36:39], v[6:7], off offset:-8
	global_load_b128 v[40:43], v[4:5], off offset:-8
	v_add_nc_u64_e32 v[24:25], 0x1000, v[24:25]
	s_wait_xcnt 0x0
	v_add_nc_u64_e32 v[4:5], 0x1000, v[4:5]
	v_add_nc_u64_e32 v[6:7], 0x1000, v[6:7]
	s_wait_loadcnt 0x1
	v_mul_f64_e32 v[44:45], v[20:21], v[38:39]
	v_mul_f64_e32 v[38:39], v[22:23], v[38:39]
	s_delay_alu instid0(VALU_DEP_2) | instskip(NEXT) | instid1(VALU_DEP_2)
	v_fmac_f64_e32 v[44:45], v[22:23], v[36:37]
	v_fma_f64 v[36:37], v[20:21], v[36:37], -v[38:39]
	s_wait_loadcnt 0x0
	s_delay_alu instid0(VALU_DEP_2) | instskip(NEXT) | instid1(VALU_DEP_2)
	v_add_f64_e64 v[42:43], v[44:45], -v[42:43]
	v_add_f64_e64 v[36:37], v[36:37], -v[40:41]
	s_delay_alu instid0(VALU_DEP_2) | instskip(NEXT) | instid1(VALU_DEP_2)
	v_mul_f64_e32 v[40:41], v[2:3], v[42:43]
	v_mul_f64_e32 v[38:39], v[2:3], v[36:37]
	s_delay_alu instid0(VALU_DEP_2) | instskip(NEXT) | instid1(VALU_DEP_2)
	v_fma_f64 v[36:37], v[0:1], v[36:37], -v[40:41]
	v_fmac_f64_e32 v[38:39], v[0:1], v[42:43]
	global_store_b128 v35, v[36:39], s[10:11] scale_offset
	s_wait_xcnt 0x0
	s_and_not1_b32 exec_lo, exec_lo, s35
	s_cbranch_execnz .LBB7_209
.LBB7_210:                              ;   in Loop: Header=BB7_6 Depth=1
	s_or_b32 exec_lo, exec_lo, s7
.LBB7_211:                              ;   in Loop: Header=BB7_6 Depth=1
	s_and_saveexec_b32 s5, s4
	s_cbranch_execz .LBB7_213
; %bb.212:                              ;   in Loop: Header=BB7_6 Depth=1
	s_add_co_i32 s6, s61, -1
	s_ashr_i32 s35, s34, 31
	s_mul_i32 s6, s6, s22
	s_ashr_i32 s49, s48, 31
	s_ashr_i32 s7, s6, 31
	s_delay_alu instid0(SALU_CYCLE_1) | instskip(NEXT) | instid1(SALU_CYCLE_1)
	s_add_nc_u64 s[6:7], s[6:7], s[34:35]
	s_lshl_b64 s[6:7], s[6:7], 4
	s_delay_alu instid0(SALU_CYCLE_1) | instskip(SKIP_3) | instid1(SALU_CYCLE_1)
	s_add_nc_u64 s[6:7], s[36:37], s[6:7]
	global_load_b128 v[0:3], v9, s[6:7] offset:-16
	s_wait_xcnt 0x0
	s_add_co_i32 s6, s34, -1
	s_mul_i32 s6, s6, s55
	s_delay_alu instid0(SALU_CYCLE_1) | instskip(SKIP_1) | instid1(SALU_CYCLE_1)
	v_mov_b32_e32 v4, s6
	s_add_nc_u64 s[6:7], s[48:49], s[34:35]
	s_lshl_b64 s[6:7], s[6:7], 4
	s_delay_alu instid0(SALU_CYCLE_1)
	s_add_nc_u64 s[6:7], s[36:37], s[6:7]
	s_wait_loadcnt 0x0
	global_store_b128 v4, v[0:3], s[10:11] scale_offset
	global_load_b128 v[0:3], v9, s[6:7] offset:-16
	s_wait_xcnt 0x0
	s_mul_i32 s6, s34, s21
	s_delay_alu instid0(SALU_CYCLE_1) | instskip(NEXT) | instid1(SALU_CYCLE_1)
	s_ashr_i32 s7, s6, 31
	s_add_nc_u64 s[52:53], s[34:35], s[6:7]
	s_add_co_i32 s7, s48, s34
	s_lshl_b64 s[52:53], s[52:53], 4
	v_mov_b32_e32 v4, s7
	s_add_nc_u64 s[52:53], s[10:11], s[52:53]
	s_add_co_i32 s6, s6, s34
	s_wait_loadcnt 0x0
	global_store_b128 v9, v[0:3], s[52:53] offset:-16
	global_load_b128 v[0:3], v4, s[36:37] scale_offset
	s_wait_xcnt 0x0
	v_mov_b32_e32 v4, s6
	s_wait_loadcnt 0x0
	global_store_b128 v4, v[0:3], s[10:11] scale_offset
.LBB7_213:                              ;   in Loop: Header=BB7_6 Depth=1
	s_wait_xcnt 0x0
	s_or_b32 exec_lo, exec_lo, s5
	s_mov_b32 s6, 0
	s_wait_storecnt 0x0
	s_barrier_signal -1
	s_barrier_wait -1
.LBB7_214:                              ;   in Loop: Header=BB7_6 Depth=1
	s_mov_b32 s5, 0
	s_mov_b32 s49, -2
	s_and_b32 vcc_lo, exec_lo, s6
	s_mov_b32 s6, 0
	s_cbranch_vccz .LBB7_225
; %bb.215:                              ;   in Loop: Header=BB7_6 Depth=1
	s_add_co_i32 s6, s48, s34
	s_delay_alu instid0(SALU_CYCLE_1)
	v_mov_b32_e32 v0, s6
	global_load_b128 v[0:3], v0, s[36:37] scale_offset
	s_wait_loadcnt 0x0
	v_cmp_ngt_f64_e64 s7, |v[0:1]|, |v[2:3]|
	s_and_b32 vcc_lo, exec_lo, s7
	s_cbranch_vccz .LBB7_217
; %bb.216:                              ;   in Loop: Header=BB7_6 Depth=1
	v_div_scale_f64 v[4:5], null, v[2:3], v[2:3], v[0:1]
	v_div_scale_f64 v[18:19], vcc_lo, v[0:1], v[2:3], v[0:1]
	s_delay_alu instid0(VALU_DEP_2) | instskip(SKIP_1) | instid1(TRANS32_DEP_1)
	v_rcp_f64_e32 v[6:7], v[4:5]
	v_nop
	v_fma_f64 v[16:17], -v[4:5], v[6:7], 1.0
	s_delay_alu instid0(VALU_DEP_1) | instskip(NEXT) | instid1(VALU_DEP_1)
	v_fmac_f64_e32 v[6:7], v[6:7], v[16:17]
	v_fma_f64 v[16:17], -v[4:5], v[6:7], 1.0
	s_delay_alu instid0(VALU_DEP_1) | instskip(NEXT) | instid1(VALU_DEP_1)
	v_fmac_f64_e32 v[6:7], v[6:7], v[16:17]
	v_mul_f64_e32 v[16:17], v[18:19], v[6:7]
	s_delay_alu instid0(VALU_DEP_1) | instskip(NEXT) | instid1(VALU_DEP_1)
	v_fma_f64 v[4:5], -v[4:5], v[16:17], v[18:19]
	v_div_fmas_f64 v[4:5], v[4:5], v[6:7], v[16:17]
	s_delay_alu instid0(VALU_DEP_1) | instskip(NEXT) | instid1(VALU_DEP_1)
	v_div_fixup_f64 v[4:5], v[4:5], v[2:3], v[0:1]
	v_fma_f64 v[6:7], v[0:1], v[4:5], v[2:3]
	s_delay_alu instid0(VALU_DEP_1) | instskip(SKIP_1) | instid1(VALU_DEP_2)
	v_div_scale_f64 v[16:17], null, v[6:7], v[6:7], 1.0
	v_div_scale_f64 v[22:23], vcc_lo, 1.0, v[6:7], 1.0
	v_rcp_f64_e32 v[18:19], v[16:17]
	v_nop
	s_delay_alu instid0(TRANS32_DEP_1) | instskip(NEXT) | instid1(VALU_DEP_1)
	v_fma_f64 v[20:21], -v[16:17], v[18:19], 1.0
	v_fmac_f64_e32 v[18:19], v[18:19], v[20:21]
	s_delay_alu instid0(VALU_DEP_1) | instskip(NEXT) | instid1(VALU_DEP_1)
	v_fma_f64 v[20:21], -v[16:17], v[18:19], 1.0
	v_fmac_f64_e32 v[18:19], v[18:19], v[20:21]
	s_delay_alu instid0(VALU_DEP_1) | instskip(NEXT) | instid1(VALU_DEP_1)
	v_mul_f64_e32 v[20:21], v[22:23], v[18:19]
	v_fma_f64 v[16:17], -v[16:17], v[20:21], v[22:23]
	s_delay_alu instid0(VALU_DEP_1) | instskip(SKIP_1) | instid1(VALU_DEP_2)
	v_div_fmas_f64 v[16:17], v[16:17], v[18:19], v[20:21]
	v_add_f64_e32 v[18:19], 0, v[4:5]
	v_div_fixup_f64 v[6:7], v[16:17], v[6:7], 1.0
	v_fma_f64 v[16:17], v[4:5], 0, -1.0
	s_delay_alu instid0(VALU_DEP_2) | instskip(NEXT) | instid1(VALU_DEP_2)
	v_mul_f64_e32 v[4:5], v[18:19], v[6:7]
	v_mul_f64_e32 v[6:7], v[16:17], v[6:7]
	s_cbranch_execz .LBB7_218
	s_branch .LBB7_219
.LBB7_217:                              ;   in Loop: Header=BB7_6 Depth=1
                                        ; implicit-def: $vgpr4_vgpr5
                                        ; implicit-def: $vgpr6_vgpr7
.LBB7_218:                              ;   in Loop: Header=BB7_6 Depth=1
	v_div_scale_f64 v[4:5], null, v[0:1], v[0:1], v[2:3]
	v_div_scale_f64 v[18:19], vcc_lo, v[2:3], v[0:1], v[2:3]
	s_delay_alu instid0(VALU_DEP_2) | instskip(SKIP_1) | instid1(TRANS32_DEP_1)
	v_rcp_f64_e32 v[6:7], v[4:5]
	v_nop
	v_fma_f64 v[16:17], -v[4:5], v[6:7], 1.0
	s_delay_alu instid0(VALU_DEP_1) | instskip(NEXT) | instid1(VALU_DEP_1)
	v_fmac_f64_e32 v[6:7], v[6:7], v[16:17]
	v_fma_f64 v[16:17], -v[4:5], v[6:7], 1.0
	s_delay_alu instid0(VALU_DEP_1) | instskip(NEXT) | instid1(VALU_DEP_1)
	v_fmac_f64_e32 v[6:7], v[6:7], v[16:17]
	v_mul_f64_e32 v[16:17], v[18:19], v[6:7]
	s_delay_alu instid0(VALU_DEP_1) | instskip(NEXT) | instid1(VALU_DEP_1)
	v_fma_f64 v[4:5], -v[4:5], v[16:17], v[18:19]
	v_div_fmas_f64 v[4:5], v[4:5], v[6:7], v[16:17]
	s_delay_alu instid0(VALU_DEP_1) | instskip(NEXT) | instid1(VALU_DEP_1)
	v_div_fixup_f64 v[4:5], v[4:5], v[0:1], v[2:3]
	v_fmac_f64_e32 v[0:1], v[2:3], v[4:5]
	s_delay_alu instid0(VALU_DEP_1) | instskip(SKIP_1) | instid1(VALU_DEP_2)
	v_div_scale_f64 v[2:3], null, v[0:1], v[0:1], 1.0
	v_div_scale_f64 v[18:19], vcc_lo, 1.0, v[0:1], 1.0
	v_rcp_f64_e32 v[6:7], v[2:3]
	v_nop
	s_delay_alu instid0(TRANS32_DEP_1) | instskip(NEXT) | instid1(VALU_DEP_1)
	v_fma_f64 v[16:17], -v[2:3], v[6:7], 1.0
	v_fmac_f64_e32 v[6:7], v[6:7], v[16:17]
	s_delay_alu instid0(VALU_DEP_1) | instskip(NEXT) | instid1(VALU_DEP_1)
	v_fma_f64 v[16:17], -v[2:3], v[6:7], 1.0
	v_fmac_f64_e32 v[6:7], v[6:7], v[16:17]
	s_delay_alu instid0(VALU_DEP_1) | instskip(NEXT) | instid1(VALU_DEP_1)
	v_mul_f64_e32 v[16:17], v[18:19], v[6:7]
	v_fma_f64 v[2:3], -v[2:3], v[16:17], v[18:19]
	s_delay_alu instid0(VALU_DEP_1) | instskip(SKIP_1) | instid1(VALU_DEP_2)
	v_div_fmas_f64 v[2:3], v[2:3], v[6:7], v[16:17]
	v_fma_f64 v[6:7], v[4:5], 0, 1.0
	v_div_fixup_f64 v[0:1], v[2:3], v[0:1], 1.0
	v_add_f64_e64 v[2:3], -v[4:5], 0
	s_delay_alu instid0(VALU_DEP_2) | instskip(NEXT) | instid1(VALU_DEP_2)
	v_mul_f64_e32 v[4:5], v[6:7], v[0:1]
	v_mul_f64_e32 v[6:7], v[2:3], v[0:1]
.LBB7_219:                              ;   in Loop: Header=BB7_6 Depth=1
	s_and_saveexec_b32 s35, s4
	s_cbranch_execnz .LBB7_221
; %bb.220:                              ;   in Loop: Header=BB7_6 Depth=1
	s_or_b32 exec_lo, exec_lo, s35
	s_and_saveexec_b32 s6, s3
	s_cbranch_execnz .LBB7_222
	s_branch .LBB7_224
.LBB7_221:                              ;   in Loop: Header=BB7_6 Depth=1
	s_ashr_i32 s7, s6, 31
	s_delay_alu instid0(SALU_CYCLE_1) | instskip(NEXT) | instid1(SALU_CYCLE_1)
	s_lshl_b64 s[6:7], s[6:7], 4
	s_add_nc_u64 s[6:7], s[36:37], s[6:7]
	global_load_b128 v[0:3], v9, s[6:7]
	s_wait_xcnt 0x0
	s_mul_i32 s6, s34, s55
	s_delay_alu instid0(SALU_CYCLE_1)
	v_mov_b32_e32 v16, s6
	s_wait_loadcnt 0x0
	global_store_b128 v16, v[0:3], s[10:11] scale_offset
	s_wait_xcnt 0x0
	s_or_b32 exec_lo, exec_lo, s35
	s_and_saveexec_b32 s6, s3
	s_cbranch_execz .LBB7_224
.LBB7_222:                              ;   in Loop: Header=BB7_6 Depth=1
	v_mad_u32 v2, s34, s21, v26
	v_dual_add_nc_u32 v0, s48, v26 :: v_dual_mov_b32 v16, v26
	s_mov_b32 s3, 0
	s_delay_alu instid0(VALU_DEP_1) | instskip(NEXT) | instid1(VALU_DEP_1)
	v_dual_ashrrev_i32 v1, 31, v0 :: v_dual_ashrrev_i32 v3, 31, v2
	v_lshl_add_u64 v[0:1], v[0:1], 4, s[42:43]
	s_delay_alu instid0(VALU_DEP_2)
	v_lshl_add_u64 v[2:3], v[2:3], 4, s[46:47]
.LBB7_223:                              ;   Parent Loop BB7_6 Depth=1
                                        ; =>  This Inner Loop Header: Depth=2
	global_load_b128 v[18:21], v[0:1], off offset:-8
	v_add_nc_u32_e32 v16, 0x100, v16
	s_wait_xcnt 0x0
	v_add_nc_u64_e32 v[0:1], 0x1000, v[0:1]
	s_delay_alu instid0(VALU_DEP_2) | instskip(SKIP_4) | instid1(VALU_DEP_2)
	v_cmp_le_i32_e32 vcc_lo, s34, v16
	s_or_b32 s3, vcc_lo, s3
	s_wait_loadcnt 0x0
	v_mul_f64_e32 v[24:25], v[6:7], v[20:21]
	v_mul_f64_e32 v[22:23], v[4:5], v[20:21]
	v_fma_f64 v[20:21], v[4:5], v[18:19], -v[24:25]
	s_delay_alu instid0(VALU_DEP_2)
	v_fmac_f64_e32 v[22:23], v[6:7], v[18:19]
	global_store_b128 v[2:3], v[20:23], off offset:-8
	s_wait_xcnt 0x0
	v_add_nc_u64_e32 v[2:3], 0x1000, v[2:3]
	s_and_not1_b32 exec_lo, exec_lo, s3
	s_cbranch_execnz .LBB7_223
.LBB7_224:                              ;   in Loop: Header=BB7_6 Depth=1
	s_or_b32 exec_lo, exec_lo, s6
	s_wait_storecnt 0x0
	s_barrier_signal -1
	s_barrier_wait -1
	s_mov_b32 s6, -1
	s_mov_b32 s49, -1
.LBB7_225:                              ;   in Loop: Header=BB7_6 Depth=1
	s_and_b32 vcc_lo, exec_lo, s5
	s_cbranch_vccz .LBB7_229
; %bb.226:                              ;   in Loop: Header=BB7_6 Depth=1
	ds_load_b32 v0, v9 offset:3100
	s_wait_dscnt 0x0
	v_readfirstlane_b32 s3, v0
	s_cmp_eq_u32 s3, 0
	s_cselect_b32 s3, -1, 0
	s_delay_alu instid0(SALU_CYCLE_1) | instskip(NEXT) | instid1(SALU_CYCLE_1)
	s_and_b32 s5, s4, s3
	s_and_saveexec_b32 s3, s5
; %bb.227:                              ;   in Loop: Header=BB7_6 Depth=1
	s_add_co_i32 s5, s34, 1
	s_delay_alu instid0(SALU_CYCLE_1)
	v_mov_b32_e32 v0, s5
	ds_store_b32 v9, v0 offset:3100
; %bb.228:                              ;   in Loop: Header=BB7_6 Depth=1
	s_or_b32 exec_lo, exec_lo, s3
	s_mov_b32 s49, -1
	s_mov_b32 s6, -1
	s_mov_b32 s51, s34
.LBB7_229:                              ;   in Loop: Header=BB7_6 Depth=1
	s_and_saveexec_b32 s3, s4
	s_cbranch_execz .LBB7_4
; %bb.230:                              ;   in Loop: Header=BB7_6 Depth=1
	s_mov_b32 s35, s59
	s_xor_b32 s5, s6, -1
	s_lshl_b64 s[6:7], s[34:35], 2
	s_and_b32 vcc_lo, exec_lo, s5
	s_add_nc_u64 s[6:7], s[8:9], s[6:7]
	s_mov_b32 s5, -1
	s_cbranch_vccz .LBB7_232
; %bb.231:                              ;   in Loop: Header=BB7_6 Depth=1
	s_not_b32 s5, s51
	s_delay_alu instid0(SALU_CYCLE_1)
	v_dual_mov_b32 v0, s5 :: v_dual_mov_b32 v1, s5
	s_mov_b32 s5, 0
	global_store_b64 v9, v[0:1], s[6:7] offset:-4
.LBB7_232:                              ;   in Loop: Header=BB7_6 Depth=1
	s_and_not1_b32 vcc_lo, exec_lo, s5
	s_cbranch_vccnz .LBB7_4
; %bb.233:                              ;   in Loop: Header=BB7_6 Depth=1
	s_add_co_i32 s5, s51, 1
	s_wait_xcnt 0x0
	v_mov_b32_e32 v0, s5
	global_store_b32 v9, v0, s[6:7]
	s_branch .LBB7_4
.LBB7_234:
	s_add_co_i32 s1, s61, 1
.LBB7_235:
	s_and_saveexec_b32 s0, s4
	s_cbranch_execz .LBB7_237
; %bb.236:
	s_not_b32 s2, s34
	s_delay_alu instid0(SALU_CYCLE_1) | instskip(NEXT) | instid1(SALU_CYCLE_1)
	s_add_co_i32 s2, s22, s2
	v_dual_mov_b32 v0, 0 :: v_dual_mov_b32 v2, s2
	s_lshl_b64 s[2:3], s[30:31], 2
	s_delay_alu instid0(SALU_CYCLE_1)
	s_add_nc_u64 s[4:5], s[16:17], s[2:3]
	ds_load_b32 v1, v0 offset:3100
	s_add_nc_u64 s[2:3], s[14:15], s[2:3]
	global_store_b32 v0, v2, s[4:5]
	s_wait_dscnt 0x0
	global_store_b32 v0, v1, s[2:3]
.LBB7_237:
	s_wait_xcnt 0x0
	s_or_b32 exec_lo, exec_lo, s0
	s_abs_i32 s0, s23
	s_abs_i32 s4, s34
	s_cvt_f32_u32 s2, s0
	s_sub_co_i32 s3, 0, s0
	s_delay_alu instid0(SALU_CYCLE_2) | instskip(SKIP_1) | instid1(TRANS32_DEP_1)
	v_rcp_iflag_f32_e32 v0, s2
	v_nop
	v_readfirstlane_b32 s2, v0
	s_mul_f32 s2, s2, 0x4f7ffffe
	s_delay_alu instid0(SALU_CYCLE_3) | instskip(NEXT) | instid1(SALU_CYCLE_3)
	s_cvt_u32_f32 s2, s2
	s_mul_i32 s3, s3, s2
	s_delay_alu instid0(SALU_CYCLE_1) | instskip(NEXT) | instid1(SALU_CYCLE_1)
	s_mul_hi_u32 s3, s2, s3
	s_add_co_i32 s2, s2, s3
	s_ashr_i32 s3, s34, 31
	s_mul_hi_u32 s2, s4, s2
	s_delay_alu instid0(SALU_CYCLE_1) | instskip(NEXT) | instid1(SALU_CYCLE_1)
	s_mul_i32 s2, s2, s0
	s_sub_co_i32 s2, s4, s2
	s_delay_alu instid0(SALU_CYCLE_1) | instskip(SKIP_2) | instid1(SALU_CYCLE_1)
	s_sub_co_i32 s4, s2, s0
	s_cmp_ge_u32 s2, s0
	s_cselect_b32 s2, s4, s2
	s_sub_co_i32 s4, s2, s0
	s_cmp_ge_u32 s2, s0
	s_cselect_b32 s0, s4, s2
	s_add_co_i32 s30, s34, 1
	s_xor_b32 s0, s0, s3
	s_delay_alu instid0(SALU_CYCLE_1) | instskip(SKIP_2) | instid1(SALU_CYCLE_1)
	s_sub_co_i32 s0, s3, s0
	s_mov_b32 s3, 0
	s_add_co_i32 s0, s34, s0
	s_cmp_lt_i32 s0, 0
	s_cbranch_scc1 .LBB7_256
; %bb.238:
	s_not_b32 s2, s34
	s_mul_i32 s4, s30, s21
	s_mul_i32 s6, s1, s22
	s_add_co_i32 s31, s22, s2
	s_ashr_i32 s5, s4, 31
	s_ashr_i32 s7, s6, 31
	s_cmp_gt_i32 s31, 0
	s_add_nc_u64 s[12:13], s[12:13], s[26:27]
	s_cselect_b32 s33, -1, 0
	s_lshl_b64 s[4:5], s[4:5], 4
	v_mov_b32_e32 v9, 0
	s_add_nc_u64 s[12:13], s[12:13], s[4:5]
	s_lshl_b64 s[14:15], s[28:29], 4
	s_add_nc_u64 s[12:13], s[18:19], s[12:13]
	s_lshl_b64 s[6:7], s[6:7], 4
	v_add_nc_u64_e32 v[0:1], s[12:13], v[8:9]
	s_mov_b32 s12, s21
	s_ashr_i32 s13, s21, 31
	s_add_nc_u64 s[14:15], s[14:15], s[6:7]
	s_lshl_b64 s[6:7], s[12:13], 4
	s_add_nc_u64 s[12:13], s[24:25], s[14:15]
	s_ashr_i32 s15, s22, 31
	v_add_nc_u64_e32 v[0:1], 8, v[0:1]
	s_mov_b32 s14, s22
	s_add_nc_u64 s[4:5], s[10:11], s[4:5]
	s_add_nc_u64 s[12:13], s[12:13], 8
	s_lshl_b64 s[14:15], s[14:15], 4
	s_branch .LBB7_240
.LBB7_239:                              ;   in Loop: Header=BB7_240 Depth=1
	s_or_b32 exec_lo, exec_lo, s24
	s_sub_co_i32 s0, s0, s23
	s_delay_alu instid0(SALU_CYCLE_1)
	s_cmp_gt_i32 s0, -1
	s_cbranch_scc0 .LBB7_256
.LBB7_240:                              ; =>This Loop Header: Depth=1
                                        ;     Child Loop BB7_243 Depth 2
                                        ;       Child Loop BB7_246 Depth 3
                                        ;         Child Loop BB7_248 Depth 4
                                        ;     Child Loop BB7_253 Depth 2
                                        ;       Child Loop BB7_255 Depth 3
	s_sub_co_i32 s2, s30, s0
	s_mov_b32 s1, s3
	s_min_i32 s2, s2, s23
	s_lshl_b64 s[18:19], s[0:1], 4
	s_cmp_lt_i32 s2, 1
	s_add_nc_u64 s[16:17], s[12:13], s[18:19]
	s_cbranch_scc1 .LBB7_249
; %bb.241:                              ;   in Loop: Header=BB7_240 Depth=1
	v_add_nc_u64_e32 v[2:3], s[18:19], v[0:1]
	s_add_co_i32 s1, s2, s0
	s_add_nc_u64 s[18:19], s[10:11], s[18:19]
	s_mov_b64 s[24:25], s[16:17]
	s_mov_b32 s34, s0
	s_branch .LBB7_243
.LBB7_242:                              ;   in Loop: Header=BB7_243 Depth=2
	s_or_b32 exec_lo, exec_lo, s36
	s_add_co_i32 s34, s34, 1
	s_add_nc_u64 s[24:25], s[24:25], 16
	s_cmp_lt_i32 s34, s1
	s_cbranch_scc0 .LBB7_249
.LBB7_243:                              ;   Parent Loop BB7_240 Depth=1
                                        ; =>  This Loop Header: Depth=2
                                        ;       Child Loop BB7_246 Depth 3
                                        ;         Child Loop BB7_248 Depth 4
	s_sub_co_i32 s35, s34, s0
	s_mov_b32 s36, exec_lo
	v_cmpx_ge_i32_e64 s35, v26
	s_cbranch_execz .LBB7_242
; %bb.244:                              ;   in Loop: Header=BB7_243 Depth=2
	s_mul_i32 s26, s34, s21
	v_mov_b64_e32 v[4:5], v[2:3]
	s_ashr_i32 s27, s26, 31
	v_mov_b32_e32 v8, v26
	s_lshl_b64 s[26:27], s[26:27], 4
	s_mov_b32 s37, 0
	s_add_nc_u64 s[26:27], s[18:19], s[26:27]
	s_branch .LBB7_246
.LBB7_245:                              ;   in Loop: Header=BB7_246 Depth=3
	global_load_b128 v[12:15], v8, s[26:27] scale_offset
	v_fma_f64 v[16:17], 0x80000000, v[6:7], -v[10:11]
	v_fma_f64 v[6:7], v[10:11], 0, -v[6:7]
	v_add_nc_u64_e32 v[4:5], 0x1000, v[4:5]
	s_wait_loadcnt 0x0
	v_fmamk_f64 v[10:11], v[14:15], 0x80000000, v[12:13]
	v_fmac_f64_e32 v[14:15], 0, v[12:13]
	s_delay_alu instid0(VALU_DEP_2) | instskip(NEXT) | instid1(VALU_DEP_2)
	v_add_f64_e32 v[10:11], v[16:17], v[10:11]
	v_add_f64_e32 v[12:13], v[6:7], v[14:15]
	global_store_b128 v8, v[10:13], s[26:27] scale_offset
	s_wait_xcnt 0x0
	v_add_nc_u32_e32 v8, 0x100, v8
	s_delay_alu instid0(VALU_DEP_1) | instskip(SKIP_1) | instid1(SALU_CYCLE_1)
	v_cmp_lt_i32_e32 vcc_lo, s35, v8
	s_or_b32 s37, vcc_lo, s37
	s_and_not1_b32 exec_lo, exec_lo, s37
	s_cbranch_execz .LBB7_242
.LBB7_246:                              ;   Parent Loop BB7_240 Depth=1
                                        ;     Parent Loop BB7_243 Depth=2
                                        ; =>    This Loop Header: Depth=3
                                        ;         Child Loop BB7_248 Depth 4
	v_mov_b64_e32 v[6:7], 0
	v_mov_b64_e32 v[10:11], 0
	s_and_not1_b32 vcc_lo, exec_lo, s33
	s_cbranch_vccnz .LBB7_245
; %bb.247:                              ;   in Loop: Header=BB7_246 Depth=3
	v_mov_b64_e32 v[12:13], v[4:5]
	s_mov_b64 s[28:29], s[24:25]
	s_mov_b32 s38, s31
.LBB7_248:                              ;   Parent Loop BB7_240 Depth=1
                                        ;     Parent Loop BB7_243 Depth=2
                                        ;       Parent Loop BB7_246 Depth=3
                                        ; =>      This Inner Loop Header: Depth=4
	global_load_b128 v[14:17], v9, s[28:29] offset:-8
	global_load_b128 v[18:21], v[12:13], off offset:-8
	s_wait_xcnt 0x0
	v_add_nc_u64_e32 v[12:13], s[6:7], v[12:13]
	s_add_co_i32 s38, s38, -1
	s_add_nc_u64 s[28:29], s[28:29], s[14:15]
	s_cmp_eq_u32 s38, 0
	s_wait_loadcnt 0x0
	v_mul_f64_e32 v[22:23], v[16:17], v[20:21]
	v_mul_f64_e32 v[20:21], v[14:15], v[20:21]
	s_delay_alu instid0(VALU_DEP_2) | instskip(NEXT) | instid1(VALU_DEP_2)
	v_fma_f64 v[14:15], v[14:15], v[18:19], -v[22:23]
	v_fmac_f64_e32 v[20:21], v[16:17], v[18:19]
	s_delay_alu instid0(VALU_DEP_2) | instskip(NEXT) | instid1(VALU_DEP_2)
	v_add_f64_e32 v[10:11], v[10:11], v[14:15]
	v_add_f64_e32 v[6:7], v[6:7], v[20:21]
	s_cbranch_scc0 .LBB7_248
	s_branch .LBB7_245
.LBB7_249:                              ;   in Loop: Header=BB7_240 Depth=1
	s_mul_i32 s1, s2, s0
	s_mov_b32 s24, exec_lo
	v_cmpx_gt_i32_e64 s1, v26
	s_cbranch_execz .LBB7_239
; %bb.250:                              ;   in Loop: Header=BB7_240 Depth=1
	s_cvt_f32_u32 s2, s0
	s_mul_i32 s18, s0, s21
	s_sub_co_i32 s25, 0, s0
	s_ashr_i32 s19, s18, 31
	v_rcp_iflag_f32_e32 v2, s2
	v_mov_b32_e32 v8, v26
	s_lshl_b64 s[18:19], s[18:19], 4
	s_delay_alu instid0(SALU_CYCLE_1) | instskip(NEXT) | instid1(TRANS32_DEP_1)
	s_add_nc_u64 s[18:19], s[10:11], s[18:19]
	v_readfirstlane_b32 s2, v2
	s_mul_f32 s2, s2, 0x4f7ffffe
	s_delay_alu instid0(SALU_CYCLE_3) | instskip(NEXT) | instid1(SALU_CYCLE_3)
	s_cvt_u32_f32 s2, s2
	s_mul_i32 s25, s25, s2
	s_delay_alu instid0(SALU_CYCLE_1)
	s_mul_hi_u32 s26, s2, s25
	s_mov_b32 s25, 0
	s_add_co_i32 s2, s2, s26
	s_branch .LBB7_253
.LBB7_251:                              ;   in Loop: Header=BB7_253 Depth=2
	v_mov_b64_e32 v[4:5], 0
	v_mov_b64_e32 v[6:7], 0
.LBB7_252:                              ;   in Loop: Header=BB7_253 Depth=2
	s_delay_alu instid0(VALU_DEP_3) | instskip(NEXT) | instid1(VALU_DEP_2)
	v_mad_u32 v14, v2, s21, v12
	v_fma_f64 v[2:3], 0x80000000, v[4:5], -v[6:7]
	v_fma_f64 v[4:5], v[6:7], 0, -v[4:5]
	v_add_nc_u32_e32 v8, 0x100, v8
	s_delay_alu instid0(VALU_DEP_1)
	v_cmp_le_i32_e32 vcc_lo, s1, v8
	global_load_b128 v[10:13], v14, s[18:19] scale_offset
	s_or_b32 s25, vcc_lo, s25
	s_wait_loadcnt 0x0
	v_fmamk_f64 v[6:7], v[12:13], 0x80000000, v[10:11]
	v_fmac_f64_e32 v[12:13], 0, v[10:11]
	s_delay_alu instid0(VALU_DEP_2) | instskip(NEXT) | instid1(VALU_DEP_2)
	v_add_f64_e32 v[2:3], v[2:3], v[6:7]
	v_add_f64_e32 v[4:5], v[4:5], v[12:13]
	global_store_b128 v14, v[2:5], s[18:19] scale_offset
	s_wait_xcnt 0x0
	s_and_not1_b32 exec_lo, exec_lo, s25
	s_cbranch_execz .LBB7_239
.LBB7_253:                              ;   Parent Loop BB7_240 Depth=1
                                        ; =>  This Loop Header: Depth=2
                                        ;       Child Loop BB7_255 Depth 3
	v_mul_u64_e32 v[2:3], s[2:3], v[8:9]
	s_delay_alu instid0(VALU_DEP_1) | instskip(NEXT) | instid1(VALU_DEP_1)
	v_mul_lo_u32 v2, v3, s0
	v_dual_add_nc_u32 v4, 1, v3 :: v_dual_sub_nc_u32 v2, v8, v2
	s_delay_alu instid0(VALU_DEP_1) | instskip(SKIP_1) | instid1(VALU_DEP_2)
	v_subrev_nc_u32_e32 v5, s0, v2
	v_cmp_le_u32_e32 vcc_lo, s0, v2
	v_dual_cndmask_b32 v3, v3, v4 :: v_dual_cndmask_b32 v2, v2, v5
	s_delay_alu instid0(VALU_DEP_1) | instskip(NEXT) | instid1(VALU_DEP_2)
	v_add_nc_u32_e32 v4, 1, v3
	v_cmp_le_u32_e32 vcc_lo, s0, v2
	s_delay_alu instid0(VALU_DEP_2) | instskip(SKIP_1) | instid1(VALU_DEP_1)
	v_cndmask_b32_e32 v2, v3, v4, vcc_lo
	s_and_not1_b32 vcc_lo, exec_lo, s33
	v_mul_lo_u32 v3, v2, s0
	s_delay_alu instid0(VALU_DEP_1)
	v_sub_nc_u32_e32 v12, v8, v3
	s_cbranch_vccnz .LBB7_251
; %bb.254:                              ;   in Loop: Header=BB7_253 Depth=2
	v_ashrrev_i32_e32 v3, 31, v2
	v_mov_b64_e32 v[4:5], 0
	v_mov_b64_e32 v[6:7], 0
	s_mov_b32 s26, s31
	s_delay_alu instid0(VALU_DEP_3)
	v_lshl_add_u64 v[10:11], v[2:3], 4, s[16:17]
	v_mov_b32_e32 v3, v12
.LBB7_255:                              ;   Parent Loop BB7_240 Depth=1
                                        ;     Parent Loop BB7_253 Depth=2
                                        ; =>    This Inner Loop Header: Depth=3
	global_load_b128 v[14:17], v[10:11], off offset:-8
	global_load_b128 v[18:21], v3, s[4:5] scale_offset
	s_wait_xcnt 0x1
	v_add_nc_u64_e32 v[10:11], s[14:15], v[10:11]
	s_add_co_i32 s26, s26, -1
	s_wait_xcnt 0x0
	v_add_nc_u32_e32 v3, s21, v3
	s_cmp_eq_u32 s26, 0
	s_wait_loadcnt 0x0
	v_mul_f64_e32 v[22:23], v[16:17], v[20:21]
	v_mul_f64_e32 v[20:21], v[14:15], v[20:21]
	s_delay_alu instid0(VALU_DEP_2) | instskip(NEXT) | instid1(VALU_DEP_2)
	v_fma_f64 v[14:15], v[14:15], v[18:19], -v[22:23]
	v_fmac_f64_e32 v[20:21], v[16:17], v[18:19]
	s_delay_alu instid0(VALU_DEP_2) | instskip(NEXT) | instid1(VALU_DEP_2)
	v_add_f64_e32 v[6:7], v[6:7], v[14:15]
	v_add_f64_e32 v[4:5], v[4:5], v[20:21]
	s_cbranch_scc0 .LBB7_255
	s_branch .LBB7_252
.LBB7_256:
	s_cmp_ge_i32 s30, s20
	s_wait_storecnt_dscnt 0x0
	s_barrier_signal -1
	s_barrier_wait -1
	s_cbranch_scc1 .LBB7_264
; %bb.257:
	v_lshl_add_u32 v0, v28, 4, 0x2c20
	s_lshl_b32 s0, s21, 8
	s_branch .LBB7_260
.LBB7_258:                              ;   in Loop: Header=BB7_260 Depth=1
	s_or_b32 exec_lo, exec_lo, s4
	s_wait_storecnt_dscnt 0x0
	s_barrier_signal -1
	s_barrier_wait -1
.LBB7_259:                              ;   in Loop: Header=BB7_260 Depth=1
	s_cmp_lt_i32 s1, s20
	s_mov_b32 s30, s1
	s_cbranch_scc0 .LBB7_264
.LBB7_260:                              ; =>This Loop Header: Depth=1
                                        ;     Child Loop BB7_263 Depth 2
	v_mov_b32_e32 v1, s30
	global_load_b32 v1, v1, s[8:9] scale_offset
	s_wait_loadcnt 0x0
	v_readfirstlane_b32 s1, v1
	s_not_b32 s2, s1
	s_add_co_i32 s3, s1, -1
	s_cmp_lt_i32 s1, 0
	s_cselect_b32 s2, s2, s3
	s_lshr_b32 s5, s1, 31
	s_delay_alu instid0(SALU_CYCLE_1) | instskip(NEXT) | instid1(SALU_CYCLE_1)
	s_add_co_i32 s1, s30, s5
	s_add_co_i32 s1, s1, 1
	s_cmp_eq_u32 s2, s30
	s_cselect_b32 s3, -1, 0
	s_cmp_le_i32 s22, s1
	s_cselect_b32 s4, -1, 0
	s_delay_alu instid0(SALU_CYCLE_1) | instskip(NEXT) | instid1(SALU_CYCLE_1)
	s_or_b32 s3, s3, s4
	s_and_b32 vcc_lo, exec_lo, s3
	s_cbranch_vccnz .LBB7_259
; %bb.261:                              ;   in Loop: Header=BB7_260 Depth=1
	s_sub_co_i32 s3, s22, s1
	s_mov_b32 s4, exec_lo
	v_cmpx_gt_i32_e64 s3, v26
	s_cbranch_execz .LBB7_258
; %bb.262:                              ;   in Loop: Header=BB7_260 Depth=1
	v_add3_u32 v1, s5, s30, v27
	v_mov_b32_e32 v2, v26
	s_mov_b32 s5, 0
	s_delay_alu instid0(VALU_DEP_2)
	v_mul_lo_u32 v1, s21, v1
.LBB7_263:                              ;   Parent Loop BB7_260 Depth=1
                                        ; =>  This Inner Loop Header: Depth=2
	s_delay_alu instid0(VALU_DEP_1) | instskip(NEXT) | instid1(VALU_DEP_3)
	v_dual_add_nc_u32 v3, s2, v1 :: v_dual_add_nc_u32 v12, s30, v1
	v_add_nc_u32_e32 v2, 0x100, v2
	v_add_nc_u32_e32 v1, s0, v1
	s_clause 0x1
	global_load_b128 v[4:7], v3, s[10:11] scale_offset
	global_load_b128 v[8:11], v12, s[10:11] scale_offset
	v_cmp_le_i32_e32 vcc_lo, s3, v2
	s_or_b32 s5, vcc_lo, s5
	s_wait_loadcnt 0x1
	ds_store_2addr_b64 v0, v[4:5], v[6:7] offset1:1
	s_wait_loadcnt 0x0
	s_clause 0x1
	global_store_b128 v3, v[8:11], s[10:11] scale_offset
	global_store_b128 v12, v[4:7], s[10:11] scale_offset
	s_wait_xcnt 0x0
	s_and_not1_b32 exec_lo, exec_lo, s5
	s_cbranch_execnz .LBB7_263
	s_branch .LBB7_258
.LBB7_264:
	s_endpgm
	.section	.rodata,"a",@progbits
	.p2align	6, 0x0
	.amdhsa_kernel _ZN9rocsolver6v33100L18lasyf_kernel_upperI19rocblas_complex_numIdEPS3_EEviiPiT0_iilS5_lS5_PT_
		.amdhsa_group_segment_fixed_size 15392
		.amdhsa_private_segment_fixed_size 0
		.amdhsa_kernarg_size 72
		.amdhsa_user_sgpr_count 4
		.amdhsa_user_sgpr_dispatch_ptr 1
		.amdhsa_user_sgpr_queue_ptr 0
		.amdhsa_user_sgpr_kernarg_segment_ptr 1
		.amdhsa_user_sgpr_dispatch_id 0
		.amdhsa_user_sgpr_kernarg_preload_length 0
		.amdhsa_user_sgpr_kernarg_preload_offset 0
		.amdhsa_user_sgpr_private_segment_size 0
		.amdhsa_wavefront_size32 1
		.amdhsa_uses_dynamic_stack 0
		.amdhsa_enable_private_segment 0
		.amdhsa_system_sgpr_workgroup_id_x 1
		.amdhsa_system_sgpr_workgroup_id_y 1
		.amdhsa_system_sgpr_workgroup_id_z 0
		.amdhsa_system_sgpr_workgroup_info 0
		.amdhsa_system_vgpr_workitem_id 2
		.amdhsa_next_free_vgpr 46
		.amdhsa_next_free_sgpr 66
		.amdhsa_named_barrier_count 0
		.amdhsa_reserve_vcc 1
		.amdhsa_float_round_mode_32 0
		.amdhsa_float_round_mode_16_64 0
		.amdhsa_float_denorm_mode_32 3
		.amdhsa_float_denorm_mode_16_64 3
		.amdhsa_fp16_overflow 0
		.amdhsa_memory_ordered 1
		.amdhsa_forward_progress 1
		.amdhsa_inst_pref_size 95
		.amdhsa_round_robin_scheduling 0
		.amdhsa_exception_fp_ieee_invalid_op 0
		.amdhsa_exception_fp_denorm_src 0
		.amdhsa_exception_fp_ieee_div_zero 0
		.amdhsa_exception_fp_ieee_overflow 0
		.amdhsa_exception_fp_ieee_underflow 0
		.amdhsa_exception_fp_ieee_inexact 0
		.amdhsa_exception_int_div_zero 0
	.end_amdhsa_kernel
	.section	.text._ZN9rocsolver6v33100L18lasyf_kernel_upperI19rocblas_complex_numIdEPS3_EEviiPiT0_iilS5_lS5_PT_,"axG",@progbits,_ZN9rocsolver6v33100L18lasyf_kernel_upperI19rocblas_complex_numIdEPS3_EEviiPiT0_iilS5_lS5_PT_,comdat
.Lfunc_end7:
	.size	_ZN9rocsolver6v33100L18lasyf_kernel_upperI19rocblas_complex_numIdEPS3_EEviiPiT0_iilS5_lS5_PT_, .Lfunc_end7-_ZN9rocsolver6v33100L18lasyf_kernel_upperI19rocblas_complex_numIdEPS3_EEviiPiT0_iilS5_lS5_PT_
                                        ; -- End function
	.set _ZN9rocsolver6v33100L18lasyf_kernel_upperI19rocblas_complex_numIdEPS3_EEviiPiT0_iilS5_lS5_PT_.num_vgpr, 46
	.set _ZN9rocsolver6v33100L18lasyf_kernel_upperI19rocblas_complex_numIdEPS3_EEviiPiT0_iilS5_lS5_PT_.num_agpr, 0
	.set _ZN9rocsolver6v33100L18lasyf_kernel_upperI19rocblas_complex_numIdEPS3_EEviiPiT0_iilS5_lS5_PT_.numbered_sgpr, 66
	.set _ZN9rocsolver6v33100L18lasyf_kernel_upperI19rocblas_complex_numIdEPS3_EEviiPiT0_iilS5_lS5_PT_.num_named_barrier, 0
	.set _ZN9rocsolver6v33100L18lasyf_kernel_upperI19rocblas_complex_numIdEPS3_EEviiPiT0_iilS5_lS5_PT_.private_seg_size, 0
	.set _ZN9rocsolver6v33100L18lasyf_kernel_upperI19rocblas_complex_numIdEPS3_EEviiPiT0_iilS5_lS5_PT_.uses_vcc, 1
	.set _ZN9rocsolver6v33100L18lasyf_kernel_upperI19rocblas_complex_numIdEPS3_EEviiPiT0_iilS5_lS5_PT_.uses_flat_scratch, 0
	.set _ZN9rocsolver6v33100L18lasyf_kernel_upperI19rocblas_complex_numIdEPS3_EEviiPiT0_iilS5_lS5_PT_.has_dyn_sized_stack, 0
	.set _ZN9rocsolver6v33100L18lasyf_kernel_upperI19rocblas_complex_numIdEPS3_EEviiPiT0_iilS5_lS5_PT_.has_recursion, 0
	.set _ZN9rocsolver6v33100L18lasyf_kernel_upperI19rocblas_complex_numIdEPS3_EEviiPiT0_iilS5_lS5_PT_.has_indirect_call, 0
	.section	.AMDGPU.csdata,"",@progbits
; Kernel info:
; codeLenInByte = 12088
; TotalNumSgprs: 68
; NumVgprs: 46
; ScratchSize: 0
; MemoryBound: 0
; FloatMode: 240
; IeeeMode: 1
; LDSByteSize: 15392 bytes/workgroup (compile time only)
; SGPRBlocks: 0
; VGPRBlocks: 2
; NumSGPRsForWavesPerEU: 68
; NumVGPRsForWavesPerEU: 46
; NamedBarCnt: 0
; Occupancy: 16
; WaveLimiterHint : 1
; COMPUTE_PGM_RSRC2:SCRATCH_EN: 0
; COMPUTE_PGM_RSRC2:USER_SGPR: 4
; COMPUTE_PGM_RSRC2:TRAP_HANDLER: 0
; COMPUTE_PGM_RSRC2:TGID_X_EN: 1
; COMPUTE_PGM_RSRC2:TGID_Y_EN: 1
; COMPUTE_PGM_RSRC2:TGID_Z_EN: 0
; COMPUTE_PGM_RSRC2:TIDIG_COMP_CNT: 2
	.section	.text._ZN9rocsolver6v33100L18lasyf_kernel_lowerI19rocblas_complex_numIdEPS3_EEviiPiT0_iilS5_lS5_PT_,"axG",@progbits,_ZN9rocsolver6v33100L18lasyf_kernel_lowerI19rocblas_complex_numIdEPS3_EEviiPiT0_iilS5_lS5_PT_,comdat
	.globl	_ZN9rocsolver6v33100L18lasyf_kernel_lowerI19rocblas_complex_numIdEPS3_EEviiPiT0_iilS5_lS5_PT_ ; -- Begin function _ZN9rocsolver6v33100L18lasyf_kernel_lowerI19rocblas_complex_numIdEPS3_EEviiPiT0_iilS5_lS5_PT_
	.p2align	8
	.type	_ZN9rocsolver6v33100L18lasyf_kernel_lowerI19rocblas_complex_numIdEPS3_EEviiPiT0_iilS5_lS5_PT_,@function
_ZN9rocsolver6v33100L18lasyf_kernel_lowerI19rocblas_complex_numIdEPS3_EEviiPiT0_iilS5_lS5_PT_: ; @_ZN9rocsolver6v33100L18lasyf_kernel_lowerI19rocblas_complex_numIdEPS3_EEviiPiT0_iilS5_lS5_PT_
; %bb.0:
	v_and_b32_e32 v36, 0x3ff, v0
	s_delay_alu instid0(VALU_DEP_1)
	v_cmp_eq_u32_e64 s4, 0, v36
	s_and_saveexec_b32 s5, s4
; %bb.1:
	v_mov_b32_e32 v1, 0
	ds_store_b32 v1, v1 offset:3100
; %bb.2:
	s_or_b32 exec_lo, exec_lo, s5
	s_load_b64 s[6:7], s[0:1], 0x4
	s_clause 0x4
	s_load_b64 s[20:21], s[2:3], 0x18
	s_load_b64 s[22:23], s[2:3], 0x0
	s_load_b128 s[16:19], s[2:3], 0x8
	s_load_b256 s[8:15], s[2:3], 0x20
	s_load_b64 s[24:25], s[2:3], 0x40
	s_wait_xcnt 0x0
	s_bfe_u32 s0, ttmp6, 0x40010
	s_bfe_u32 s1, ttmp6, 0x40004
	s_add_co_i32 s0, s0, 1
	s_getreg_b32 s2, hwreg(HW_REG_IB_STS2, 6, 4)
	s_mul_i32 s0, ttmp7, s0
	v_bfe_u32 v1, v0, 10, 10
	s_add_co_i32 s3, s1, s0
	v_bfe_u32 v0, v0, 20, 10
	v_lshlrev_b32_e32 v10, 4, v36
	s_wait_kmcnt 0x0
	s_lshr_b32 s5, s6, 16
	s_ashr_i32 s1, s20, 31
	s_mul_i32 s5, s5, s7
	s_cmp_eq_u32 s2, 0
	v_mul_lo_u32 v2, s5, v36
	s_cselect_b32 s34, ttmp7, s3
	s_mov_b32 s0, s20
	s_ashr_i32 s35, s34, 31
	v_mul_lo_u32 v37, v36, s21
	v_mul_u32_u24_e32 v1, s7, v1
	s_lshl_b64 s[28:29], s[0:1], 4
	s_mul_i32 s2, s22, s34
	s_mul_u64 s[0:1], s[8:9], s[34:35]
	s_mul_i32 s2, s2, s23
	s_lshl_b64 s[30:31], s[0:1], 4
	s_mul_u64 s[6:7], s[12:13], s[34:35]
	s_ashr_i32 s3, s2, 31
	s_add_nc_u64 s[0:1], s[18:19], s[30:31]
	v_add3_u32 v38, v2, v1, v0
	s_lshl_b64 s[26:27], s[2:3], 4
	s_add_nc_u64 s[8:9], s[0:1], s[28:29]
	s_lshl_b64 s[0:1], s[6:7], 2
	s_add_nc_u64 s[12:13], s[24:25], s[26:27]
	s_cmp_lt_i32 s22, 1
	s_add_nc_u64 s[10:11], s[10:11], s[0:1]
	s_cbranch_scc1 .LBB8_264
; %bb.3:
	v_dual_lshlrev_b32 v0, 4, v38 :: v_dual_lshlrev_b32 v41, 3, v36
	s_add_nc_u64 s[6:7], s[30:31], s[28:29]
	s_add_nc_u64 s[40:41], s[24:25], s[26:27]
	;; [unrolled: 1-line block ×3, first 2 shown]
	s_delay_alu instid0(VALU_DEP_1)
	v_dual_mov_b32 v13, 0 :: v_dual_add_nc_u32 v40, 0xc20, v0
	v_add_nc_u32_e32 v43, 2, v36
	v_mul_lo_u32 v14, v36, s22
	v_add_nc_u32_e32 v39, 0x1c20, v0
	s_add_co_i32 s20, s23, -1
	v_mov_b32_e32 v11, v13
	s_cmp_eq_u32 s23, s22
	s_mov_b32 s6, s21
	s_cselect_b32 s33, -1, 0
	s_ashr_i32 s7, s21, 31
	v_add_nc_u64_e32 v[0:1], s[36:37], v[10:11]
	v_add_nc_u64_e32 v[2:3], s[40:41], v[10:11]
	v_mul_lo_u32 v11, v36, s21
	s_lshl_b64 s[42:43], s[6:7], 4
	s_lshl_b32 s6, s22, 8
	v_lshl_add_u32 v42, v36, 2, 0x800
	v_cmp_gt_u32_e64 s0, 0x80, v36
	v_add_nc_u64_e32 v[16:17], 8, v[0:1]
	v_add_nc_u64_e32 v[18:19], 16, v[2:3]
	;; [unrolled: 1-line block ×3, first 2 shown]
	v_cmp_gt_u32_e64 s1, 64, v36
	v_cmp_gt_u32_e64 s2, 32, v36
	v_dual_ashrrev_i32 v15, 31, v14 :: v_dual_add_nc_u32 v44, s21, v43
	v_mov_b32_e32 v8, v13
	s_mov_b32 s39, 0
	s_mov_b32 s38, s22
	s_ashr_i32 s7, s6, 31
	s_add_co_i32 s52, s22, -1
	s_add_co_i32 s53, s21, 1
	s_add_co_i32 s54, s22, -2
	s_add_co_i32 s55, s22, 1
	s_add_nc_u64 s[44:45], s[40:41], 8
	s_lshl_b64 s[46:47], s[38:39], 4
	s_lshl_b32 s38, s21, 8
	s_lshl_b64 s[48:49], s[6:7], 4
	s_add_nc_u64 s[50:51], s[36:37], 8
                                        ; implicit-def: $sgpr56
	s_branch .LBB8_6
.LBB8_4:                                ;   in Loop: Header=BB8_6 Depth=1
	s_wait_xcnt 0x0
	s_or_b32 exec_lo, exec_lo, s3
	v_add_nc_u32_e32 v8, v2, v8
	s_and_not1_b32 s3, s56, exec_lo
	s_delay_alu instid0(VALU_DEP_1) | instskip(SKIP_1) | instid1(SALU_CYCLE_1)
	v_cmp_le_i32_e32 vcc_lo, s22, v8
	s_and_b32 s5, vcc_lo, exec_lo
	s_or_b32 s56, s3, s5
.LBB8_5:                                ;   in Loop: Header=BB8_6 Depth=1
	s_or_b32 exec_lo, exec_lo, s57
	s_delay_alu instid0(SALU_CYCLE_1) | instskip(NEXT) | instid1(SALU_CYCLE_1)
	s_and_b32 s3, exec_lo, s56
	s_or_b32 s39, s3, s39
	s_delay_alu instid0(SALU_CYCLE_1)
	s_and_not1_b32 exec_lo, exec_lo, s39
	s_cbranch_execz .LBB8_232
.LBB8_6:                                ; =>This Loop Header: Depth=1
                                        ;     Child Loop BB8_11 Depth 2
                                        ;     Child Loop BB8_16 Depth 2
                                        ;       Child Loop BB8_18 Depth 3
                                        ;     Child Loop BB8_22 Depth 2
                                        ;     Child Loop BB8_66 Depth 2
	;; [unrolled: 1-line block ×4, first 2 shown]
                                        ;       Child Loop BB8_78 Depth 3
                                        ;     Child Loop BB8_83 Depth 2
                                        ;     Child Loop BB8_126 Depth 2
	;; [unrolled: 1-line block ×9, first 2 shown]
	v_cmp_gt_i32_e32 vcc_lo, s20, v8
	s_or_b32 s56, s56, exec_lo
	s_or_b32 s3, s33, vcc_lo
	s_delay_alu instid0(SALU_CYCLE_1)
	s_and_saveexec_b32 s57, s3
	s_cbranch_execz .LBB8_5
; %bb.7:                                ;   in Loop: Header=BB8_6 Depth=1
	v_mul_lo_u32 v4, v8, s22
	v_sub_nc_u32_e32 v47, s22, v8
	s_mov_b32 s3, exec_lo
	s_delay_alu instid0(VALU_DEP_1)
	v_cmp_lt_i32_e64 s5, v36, v47
	v_cmpx_ge_i32_e64 v36, v47
	s_xor_b32 s3, exec_lo, s3
; %bb.8:                                ;   in Loop: Header=BB8_6 Depth=1
	v_mul_lo_u32 v4, v8, s22
; %bb.9:                                ;   in Loop: Header=BB8_6 Depth=1
	s_and_not1_saveexec_b32 s3, s3
	s_cbranch_execz .LBB8_13
; %bb.10:                               ;   in Loop: Header=BB8_6 Depth=1
	v_mad_u32 v2, s53, v8, v36
	v_mad_u32 v12, s55, v8, v36
	s_mov_b32 s6, 0
	s_delay_alu instid0(VALU_DEP_2) | instskip(NEXT) | instid1(VALU_DEP_2)
	v_dual_mov_b32 v5, v36 :: v_dual_ashrrev_i32 v3, 31, v2
	v_lshl_add_u64 v[0:1], v[12:13], 4, s[40:41]
	s_delay_alu instid0(VALU_DEP_2)
	v_lshl_add_u64 v[2:3], v[2:3], 4, s[36:37]
.LBB8_11:                               ;   Parent Loop BB8_6 Depth=1
                                        ; =>  This Inner Loop Header: Depth=2
	global_load_b128 v[22:25], v[2:3], off
	v_add_nc_u32_e32 v5, 0x100, v5
	s_wait_xcnt 0x0
	v_add_nc_u64_e32 v[2:3], 0x1000, v[2:3]
	s_delay_alu instid0(VALU_DEP_2)
	v_cmp_ge_i32_e32 vcc_lo, v5, v47
	s_or_b32 s6, vcc_lo, s6
	s_wait_loadcnt 0x0
	global_store_b128 v[0:1], v[22:25], off
	s_wait_xcnt 0x0
	v_add_nc_u64_e32 v[0:1], 0x1000, v[0:1]
	s_and_not1_b32 exec_lo, exec_lo, s6
	s_cbranch_execnz .LBB8_11
; %bb.12:                               ;   in Loop: Header=BB8_6 Depth=1
	s_or_b32 exec_lo, exec_lo, s6
.LBB8_13:                               ;   in Loop: Header=BB8_6 Depth=1
	s_delay_alu instid0(SALU_CYCLE_1) | instskip(NEXT) | instid1(VALU_DEP_1)
	s_or_b32 exec_lo, exec_lo, s3
	v_dual_mov_b32 v9, v13 :: v_dual_ashrrev_i32 v5, 31, v4
	s_wait_storecnt_dscnt 0x0
	s_barrier_signal -1
	s_barrier_wait -1
	s_delay_alu instid0(VALU_DEP_1) | instskip(NEXT) | instid1(VALU_DEP_1)
	v_lshl_add_u64 v[6:7], v[8:9], 4, s[12:13]
	v_lshl_add_u64 v[22:23], v[4:5], 4, v[6:7]
	s_and_saveexec_b32 s6, s5
	s_cbranch_execz .LBB8_20
; %bb.14:                               ;   in Loop: Header=BB8_6 Depth=1
	v_lshlrev_b64_e32 v[2:3], 4, v[8:9]
	v_mov_b32_e32 v12, v36
	s_mov_b32 s7, 0
	v_cmp_ne_u32_e32 vcc_lo, 0, v8
	s_delay_alu instid0(VALU_DEP_3)
	v_add_nc_u64_e32 v[0:1], v[16:17], v[2:3]
	v_add_nc_u64_e32 v[2:3], s[44:45], v[2:3]
	s_branch .LBB8_16
.LBB8_15:                               ;   in Loop: Header=BB8_16 Depth=2
	s_or_b32 exec_lo, exec_lo, s58
	v_lshl_add_u64 v[32:33], v[12:13], 4, v[22:23]
	s_delay_alu instid0(VALU_DEP_2)
	v_fma_f64 v[34:35], 0x80000000, v[24:25], -v[26:27]
	v_fma_f64 v[26:27], v[26:27], 0, -v[24:25]
	v_add_nc_u32_e32 v12, 0x100, v12
	v_add_nc_u64_e32 v[0:1], 0x1000, v[0:1]
	global_load_b128 v[28:31], v[32:33], off
	v_cmp_ge_i32_e64 s3, v12, v47
	s_or_b32 s7, s3, s7
	s_wait_loadcnt 0x0
	v_fmamk_f64 v[24:25], v[30:31], 0x80000000, v[28:29]
	v_fmac_f64_e32 v[30:31], 0, v[28:29]
	s_delay_alu instid0(VALU_DEP_2) | instskip(NEXT) | instid1(VALU_DEP_2)
	v_add_f64_e32 v[24:25], v[34:35], v[24:25]
	v_add_f64_e32 v[26:27], v[26:27], v[30:31]
	global_store_b128 v[32:33], v[24:27], off
	s_wait_xcnt 0x0
	s_and_not1_b32 exec_lo, exec_lo, s7
	s_cbranch_execz .LBB8_20
.LBB8_16:                               ;   Parent Loop BB8_6 Depth=1
                                        ; =>  This Loop Header: Depth=2
                                        ;       Child Loop BB8_18 Depth 3
	v_mov_b64_e32 v[24:25], 0
	v_mov_b64_e32 v[26:27], 0
	s_and_saveexec_b32 s58, vcc_lo
	s_cbranch_execz .LBB8_15
; %bb.17:                               ;   in Loop: Header=BB8_16 Depth=2
	v_mov_b64_e32 v[24:25], 0
	v_mov_b64_e32 v[28:29], v[2:3]
	;; [unrolled: 1-line block ×4, first 2 shown]
	v_mov_b32_e32 v32, v8
	s_mov_b32 s59, 0
.LBB8_18:                               ;   Parent Loop BB8_6 Depth=1
                                        ;     Parent Loop BB8_16 Depth=2
                                        ; =>    This Inner Loop Header: Depth=3
	global_load_b128 v[48:51], v[28:29], off offset:-8
	global_load_b128 v[52:55], v[30:31], off offset:-8
	s_wait_xcnt 0x0
	v_add_nc_u64_e32 v[30:31], s[42:43], v[30:31]
	v_add_nc_u64_e32 v[28:29], s[46:47], v[28:29]
	v_add_nc_u32_e32 v32, -1, v32
	s_delay_alu instid0(VALU_DEP_1) | instskip(SKIP_4) | instid1(VALU_DEP_2)
	v_cmp_eq_u32_e64 s3, 0, v32
	s_or_b32 s59, s3, s59
	s_wait_loadcnt 0x0
	v_mul_f64_e32 v[34:35], v[50:51], v[54:55]
	v_mul_f64_e32 v[54:55], v[48:49], v[54:55]
	v_fma_f64 v[34:35], v[48:49], v[52:53], -v[34:35]
	s_delay_alu instid0(VALU_DEP_2) | instskip(NEXT) | instid1(VALU_DEP_2)
	v_fmac_f64_e32 v[54:55], v[50:51], v[52:53]
	v_add_f64_e32 v[26:27], v[26:27], v[34:35]
	s_delay_alu instid0(VALU_DEP_2)
	v_add_f64_e32 v[24:25], v[24:25], v[54:55]
	s_and_not1_b32 exec_lo, exec_lo, s59
	s_cbranch_execnz .LBB8_18
; %bb.19:                               ;   in Loop: Header=BB8_16 Depth=2
	s_or_b32 exec_lo, exec_lo, s59
	s_branch .LBB8_15
.LBB8_20:                               ;   in Loop: Header=BB8_6 Depth=1
	s_or_b32 exec_lo, exec_lo, s6
	v_add_nc_u32_e32 v46, -1, v47
	v_mov_b64_e32 v[0:1], 0
	v_bfrev_b32_e32 v12, -2
	s_wait_storecnt 0x0
	s_barrier_signal -1
	v_cmp_lt_i32_e64 s3, v36, v46
	s_barrier_wait -1
	s_and_saveexec_b32 s58, s3
	s_cbranch_execz .LBB8_24
; %bb.21:                               ;   in Loop: Header=BB8_6 Depth=1
	v_lshlrev_b64_e32 v[0:1], 4, v[8:9]
	v_bfrev_b32_e32 v12, -2
	v_mov_b32_e32 v24, v36
	s_mov_b32 s59, 0
	s_delay_alu instid0(VALU_DEP_3) | instskip(NEXT) | instid1(VALU_DEP_1)
	v_lshl_add_u64 v[0:1], v[4:5], 4, v[0:1]
	v_add_nc_u64_e32 v[2:3], v[18:19], v[0:1]
	v_mov_b64_e32 v[0:1], 0
.LBB8_22:                               ;   Parent Loop BB8_6 Depth=1
                                        ; =>  This Inner Loop Header: Depth=2
	global_load_b128 v[26:29], v[2:3], off
	s_wait_xcnt 0x0
	v_add_nc_u64_e32 v[2:3], 0x1000, v[2:3]
	s_wait_loadcnt 0x0
	v_cmp_gt_f64_e32 vcc_lo, 0, v[28:29]
	v_cmp_gt_f64_e64 s6, 0, v[26:27]
	v_xor_b32_e32 v25, 0x80000000, v27
	v_xor_b32_e32 v30, 0x80000000, v29
	s_delay_alu instid0(VALU_DEP_1) | instskip(SKIP_1) | instid1(VALU_DEP_2)
	v_dual_cndmask_b32 v29, v29, v30, vcc_lo :: v_dual_cndmask_b32 v27, v27, v25, s6
	v_cmp_eq_u32_e64 s6, 0x7fffffff, v12
	v_add_f64_e32 v[26:27], v[26:27], v[28:29]
	s_delay_alu instid0(VALU_DEP_1) | instskip(SKIP_1) | instid1(SALU_CYCLE_1)
	v_cmp_lt_f64_e32 vcc_lo, v[0:1], v[26:27]
	s_or_b32 vcc_lo, vcc_lo, s6
	v_dual_add_nc_u32 v25, 1, v24 :: v_dual_cndmask_b32 v1, v1, v27, vcc_lo
	v_add_nc_u32_e32 v24, 0x100, v24
	v_cndmask_b32_e32 v0, v0, v26, vcc_lo
	s_delay_alu instid0(VALU_DEP_3) | instskip(NEXT) | instid1(VALU_DEP_3)
	v_cndmask_b32_e32 v12, v12, v25, vcc_lo
	v_cmp_ge_i32_e64 s7, v24, v46
	s_or_b32 s59, s7, s59
	s_delay_alu instid0(SALU_CYCLE_1)
	s_and_not1_b32 exec_lo, exec_lo, s59
	s_cbranch_execnz .LBB8_22
; %bb.23:                               ;   in Loop: Header=BB8_6 Depth=1
	s_or_b32 exec_lo, exec_lo, s59
.LBB8_24:                               ;   in Loop: Header=BB8_6 Depth=1
	s_delay_alu instid0(SALU_CYCLE_1) | instskip(NEXT) | instid1(SALU_CYCLE_1)
	s_or_b32 exec_lo, exec_lo, s58
	s_mov_b32 s58, exec_lo
	ds_store_b64 v41, v[0:1]
	ds_store_b32 v42, v12
	s_wait_dscnt 0x0
	s_barrier_signal -1
	s_barrier_wait -1
	v_cmpx_lt_i32_e32 2, v47
	s_cbranch_execz .LBB8_60
; %bb.25:                               ;   in Loop: Header=BB8_6 Depth=1
	s_and_saveexec_b32 s7, s0
	s_cbranch_execz .LBB8_31
; %bb.26:                               ;   in Loop: Header=BB8_6 Depth=1
	ds_load_b64 v[2:3], v41 offset:1024
	ds_load_b32 v24, v42 offset:512
	s_mov_b32 s60, exec_lo
	s_wait_dscnt 0x1
	v_cmp_lt_f64_e64 s59, v[0:1], v[2:3]
	v_cmpx_nlt_f64_e32 v[0:1], v[2:3]
	s_cbranch_execz .LBB8_28
; %bb.27:                               ;   in Loop: Header=BB8_6 Depth=1
	v_cmp_eq_f64_e32 vcc_lo, v[0:1], v[2:3]
	s_wait_dscnt 0x0
	v_cmp_gt_i32_e64 s6, v12, v24
	s_and_not1_b32 s59, s59, exec_lo
	s_and_b32 s6, vcc_lo, s6
	s_delay_alu instid0(SALU_CYCLE_1) | instskip(NEXT) | instid1(SALU_CYCLE_1)
	s_and_b32 s6, s6, exec_lo
	s_or_b32 s59, s59, s6
.LBB8_28:                               ;   in Loop: Header=BB8_6 Depth=1
	s_or_b32 exec_lo, exec_lo, s60
	s_and_saveexec_b32 s6, s59
	s_cbranch_execz .LBB8_30
; %bb.29:                               ;   in Loop: Header=BB8_6 Depth=1
	v_mov_b64_e32 v[0:1], v[2:3]
	s_wait_dscnt 0x0
	v_mov_b32_e32 v12, v24
	ds_store_b64 v41, v[2:3]
	ds_store_b32 v42, v24
.LBB8_30:                               ;   in Loop: Header=BB8_6 Depth=1
	s_or_b32 exec_lo, exec_lo, s6
.LBB8_31:                               ;   in Loop: Header=BB8_6 Depth=1
	s_delay_alu instid0(SALU_CYCLE_1)
	s_or_b32 exec_lo, exec_lo, s7
	s_wait_dscnt 0x0
	s_barrier_signal -1
	s_barrier_wait -1
	s_and_saveexec_b32 s7, s1
	s_cbranch_execz .LBB8_37
; %bb.32:                               ;   in Loop: Header=BB8_6 Depth=1
	ds_load_b64 v[2:3], v41 offset:512
	ds_load_b32 v24, v42 offset:256
	s_mov_b32 s60, exec_lo
	s_wait_dscnt 0x1
	v_cmp_lt_f64_e64 s59, v[0:1], v[2:3]
	v_cmpx_nlt_f64_e32 v[0:1], v[2:3]
	s_cbranch_execz .LBB8_34
; %bb.33:                               ;   in Loop: Header=BB8_6 Depth=1
	v_cmp_eq_f64_e32 vcc_lo, v[0:1], v[2:3]
	s_wait_dscnt 0x0
	v_cmp_gt_i32_e64 s6, v12, v24
	s_and_not1_b32 s59, s59, exec_lo
	s_and_b32 s6, vcc_lo, s6
	s_delay_alu instid0(SALU_CYCLE_1) | instskip(NEXT) | instid1(SALU_CYCLE_1)
	s_and_b32 s6, s6, exec_lo
	s_or_b32 s59, s59, s6
.LBB8_34:                               ;   in Loop: Header=BB8_6 Depth=1
	s_or_b32 exec_lo, exec_lo, s60
	s_and_saveexec_b32 s6, s59
	s_cbranch_execz .LBB8_36
; %bb.35:                               ;   in Loop: Header=BB8_6 Depth=1
	v_mov_b64_e32 v[0:1], v[2:3]
	s_wait_dscnt 0x0
	v_mov_b32_e32 v12, v24
	ds_store_b64 v41, v[2:3]
	ds_store_b32 v42, v24
.LBB8_36:                               ;   in Loop: Header=BB8_6 Depth=1
	s_or_b32 exec_lo, exec_lo, s6
.LBB8_37:                               ;   in Loop: Header=BB8_6 Depth=1
	s_delay_alu instid0(SALU_CYCLE_1)
	s_or_b32 exec_lo, exec_lo, s7
	s_wait_dscnt 0x0
	s_barrier_signal -1
	s_barrier_wait -1
	s_and_b32 exec_lo, exec_lo, s2
	s_cbranch_execz .LBB8_60
; %bb.38:                               ;   in Loop: Header=BB8_6 Depth=1
	ds_load_b64 v[2:3], v41 offset:256
	ds_load_b32 v24, v42 offset:128
	s_mov_b32 s59, exec_lo
	s_wait_dscnt 0x1
	v_cmp_lt_f64_e64 s7, v[0:1], v[2:3]
	v_cmpx_nlt_f64_e32 v[0:1], v[2:3]
	s_cbranch_execz .LBB8_40
; %bb.39:                               ;   in Loop: Header=BB8_6 Depth=1
	v_cmp_eq_f64_e32 vcc_lo, v[0:1], v[2:3]
	s_wait_dscnt 0x0
	v_cmp_gt_i32_e64 s6, v12, v24
	s_and_not1_b32 s7, s7, exec_lo
	s_and_b32 s6, vcc_lo, s6
	s_delay_alu instid0(SALU_CYCLE_1) | instskip(NEXT) | instid1(SALU_CYCLE_1)
	s_and_b32 s6, s6, exec_lo
	s_or_b32 s7, s7, s6
.LBB8_40:                               ;   in Loop: Header=BB8_6 Depth=1
	s_or_b32 exec_lo, exec_lo, s59
	s_and_saveexec_b32 s6, s7
	s_cbranch_execz .LBB8_42
; %bb.41:                               ;   in Loop: Header=BB8_6 Depth=1
	v_mov_b64_e32 v[0:1], v[2:3]
	s_wait_dscnt 0x0
	v_mov_b32_e32 v12, v24
	ds_store_b64 v41, v[2:3]
	ds_store_b32 v42, v24
.LBB8_42:                               ;   in Loop: Header=BB8_6 Depth=1
	s_or_b32 exec_lo, exec_lo, s6
	ds_load_b64 v[2:3], v41 offset:128
	s_wait_dscnt 0x1
	ds_load_b32 v24, v42 offset:64
	s_mov_b32 s59, exec_lo
	s_wait_dscnt 0x1
	v_cmp_lt_f64_e64 s7, v[0:1], v[2:3]
	v_cmpx_nlt_f64_e32 v[0:1], v[2:3]
	s_cbranch_execz .LBB8_44
; %bb.43:                               ;   in Loop: Header=BB8_6 Depth=1
	v_cmp_eq_f64_e32 vcc_lo, v[0:1], v[2:3]
	s_wait_dscnt 0x0
	v_cmp_gt_i32_e64 s6, v12, v24
	s_and_not1_b32 s7, s7, exec_lo
	s_and_b32 s6, vcc_lo, s6
	s_delay_alu instid0(SALU_CYCLE_1) | instskip(NEXT) | instid1(SALU_CYCLE_1)
	s_and_b32 s6, s6, exec_lo
	s_or_b32 s7, s7, s6
.LBB8_44:                               ;   in Loop: Header=BB8_6 Depth=1
	s_or_b32 exec_lo, exec_lo, s59
	s_and_saveexec_b32 s6, s7
	s_cbranch_execz .LBB8_46
; %bb.45:                               ;   in Loop: Header=BB8_6 Depth=1
	v_mov_b64_e32 v[0:1], v[2:3]
	s_wait_dscnt 0x0
	v_mov_b32_e32 v12, v24
	ds_store_b64 v41, v[2:3]
	ds_store_b32 v42, v24
.LBB8_46:                               ;   in Loop: Header=BB8_6 Depth=1
	s_or_b32 exec_lo, exec_lo, s6
	ds_load_b64 v[2:3], v41 offset:64
	s_wait_dscnt 0x1
	;; [unrolled: 29-line block ×5, first 2 shown]
	ds_load_b32 v24, v42 offset:4
	s_wait_dscnt 0x1
	v_cmp_eq_f64_e32 vcc_lo, v[0:1], v[2:3]
	v_cmp_lt_f64_e64 s6, v[0:1], v[2:3]
	s_wait_dscnt 0x0
	v_cmp_gt_i32_e64 s7, v12, v24
	s_and_b32 s7, vcc_lo, s7
	s_delay_alu instid0(SALU_CYCLE_1) | instskip(NEXT) | instid1(SALU_CYCLE_1)
	s_or_b32 s6, s6, s7
	s_and_b32 exec_lo, exec_lo, s6
	s_cbranch_execz .LBB8_60
; %bb.59:                               ;   in Loop: Header=BB8_6 Depth=1
	ds_store_b64 v41, v[2:3]
	ds_store_b32 v42, v24
.LBB8_60:                               ;   in Loop: Header=BB8_6 Depth=1
	s_or_b32 exec_lo, exec_lo, s58
	s_and_saveexec_b32 s6, s4
	s_cbranch_execz .LBB8_62
; %bb.61:                               ;   in Loop: Header=BB8_6 Depth=1
	global_load_b128 v[0:3], v[22:23], off
	s_wait_loadcnt 0x0
	v_cmp_gt_f64_e32 vcc_lo, 0, v[0:1]
	v_xor_b32_e32 v12, 0x80000000, v1
	v_xor_b32_e32 v24, 0x80000000, v3
	s_delay_alu instid0(VALU_DEP_2) | instskip(SKIP_1) | instid1(VALU_DEP_3)
	v_cndmask_b32_e32 v1, v1, v12, vcc_lo
	v_cmp_gt_f64_e32 vcc_lo, 0, v[2:3]
	v_cndmask_b32_e32 v3, v3, v24, vcc_lo
	s_delay_alu instid0(VALU_DEP_1)
	v_add_f64_e32 v[0:1], v[0:1], v[2:3]
	ds_load_b32 v12, v13 offset:2048
	ds_load_b64 v[2:3], v13
	s_wait_dscnt 0x1
	v_add_nc_u32_e32 v12, v12, v8
	ds_store_b32 v13, v12 offset:3096
	s_wait_dscnt 0x1
	ds_store_b128 v13, v[0:3] offset:3072
.LBB8_62:                               ;   in Loop: Header=BB8_6 Depth=1
	s_or_b32 exec_lo, exec_lo, s6
	s_wait_dscnt 0x0
	s_barrier_signal -1
	s_barrier_wait -1
	ds_load_b128 v[0:3], v13 offset:3072
	v_add_nc_u32_e32 v45, 1, v8
	s_wait_dscnt 0x0
	v_cmp_lt_f64_e32 vcc_lo, v[0:1], v[2:3]
	v_dual_cndmask_b32 v25, v1, v3 :: v_dual_cndmask_b32 v24, v0, v2
	s_delay_alu instid0(VALU_DEP_1)
	v_cmp_neq_f64_e32 vcc_lo, 0, v[24:25]
	s_cbranch_vccz .LBB8_80
; %bb.63:                               ;   in Loop: Header=BB8_6 Depth=1
	v_mul_f64_e32 v[2:3], 0x3fe47e0f66afed07, v[2:3]
	s_delay_alu instid0(VALU_DEP_1)
	v_cmp_ge_f64_e32 vcc_lo, v[0:1], v[2:3]
	s_cbranch_vccnz .LBB8_175
; %bb.64:                               ;   in Loop: Header=BB8_6 Depth=1
	ds_load_b32 v2, v13 offset:3096
	s_mov_b32 s6, exec_lo
	s_wait_dscnt 0x0
	v_sub_nc_u32_e32 v3, v2, v8
	s_delay_alu instid0(VALU_DEP_1)
	v_cmpx_lt_i32_e64 v36, v3
	s_cbranch_execz .LBB8_67
; %bb.65:                               ;   in Loop: Header=BB8_6 Depth=1
	v_add_nc_u32_e32 v0, v36, v8
	s_mov_b32 s7, 0
	s_delay_alu instid0(VALU_DEP_1) | instskip(SKIP_1) | instid1(VALU_DEP_2)
	v_mad_u32 v12, v45, s22, v0
	v_mad_u32 v24, s21, v0, v2
	v_lshl_add_u64 v[0:1], v[12:13], 4, s[40:41]
	v_mov_b32_e32 v12, v36
.LBB8_66:                               ;   Parent Loop BB8_6 Depth=1
                                        ; =>  This Inner Loop Header: Depth=2
	global_load_b128 v[26:29], v24, s[8:9] scale_offset
	v_add_nc_u32_e32 v12, 0x100, v12
	s_wait_xcnt 0x0
	v_add_nc_u32_e32 v24, s38, v24
	s_delay_alu instid0(VALU_DEP_2)
	v_cmp_ge_i32_e32 vcc_lo, v12, v3
	s_or_b32 s7, vcc_lo, s7
	s_wait_loadcnt 0x0
	global_store_b128 v[0:1], v[26:29], off
	s_wait_xcnt 0x0
	v_add_nc_u64_e32 v[0:1], 0x1000, v[0:1]
	s_and_not1_b32 exec_lo, exec_lo, s7
	s_cbranch_execnz .LBB8_66
.LBB8_67:                               ;   in Loop: Header=BB8_6 Depth=1
	s_or_b32 exec_lo, exec_lo, s6
	v_sub_nc_u32_e32 v1, s22, v2
	s_mov_b32 s6, exec_lo
                                        ; implicit-def: $vgpr0
	s_delay_alu instid0(VALU_DEP_1)
	v_cmpx_ge_i32_e64 v36, v1
	s_xor_b32 s6, exec_lo, s6
; %bb.68:                               ;   in Loop: Header=BB8_6 Depth=1
	v_mul_lo_u32 v0, v45, s22
                                        ; implicit-def: $vgpr1
                                        ; implicit-def: $vgpr2
; %bb.69:                               ;   in Loop: Header=BB8_6 Depth=1
	s_and_not1_saveexec_b32 s6, s6
	s_cbranch_execz .LBB8_73
; %bb.70:                               ;   in Loop: Header=BB8_6 Depth=1
	v_mul_lo_u32 v0, v45, s22
	v_mad_u32 v24, s53, v2, v36
	v_mov_b32_e32 v12, v36
	s_mov_b32 s7, 0
	s_delay_alu instid0(VALU_DEP_3) | instskip(NEXT) | instid1(VALU_DEP_1)
	v_add3_u32 v26, v36, v2, v0
	v_dual_ashrrev_i32 v25, 31, v24 :: v_dual_ashrrev_i32 v27, 31, v26
	s_delay_alu instid0(VALU_DEP_1) | instskip(NEXT) | instid1(VALU_DEP_2)
	v_lshl_add_u64 v[2:3], v[24:25], 4, s[36:37]
	v_lshl_add_u64 v[24:25], v[26:27], 4, s[40:41]
.LBB8_71:                               ;   Parent Loop BB8_6 Depth=1
                                        ; =>  This Inner Loop Header: Depth=2
	global_load_b128 v[26:29], v[2:3], off
	v_add_nc_u32_e32 v12, 0x100, v12
	s_wait_xcnt 0x0
	v_add_nc_u64_e32 v[2:3], 0x1000, v[2:3]
	s_delay_alu instid0(VALU_DEP_2)
	v_cmp_ge_i32_e32 vcc_lo, v12, v1
	s_or_b32 s7, vcc_lo, s7
	s_wait_loadcnt 0x0
	global_store_b128 v[24:25], v[26:29], off
	s_wait_xcnt 0x0
	v_add_nc_u64_e32 v[24:25], 0x1000, v[24:25]
	s_and_not1_b32 exec_lo, exec_lo, s7
	s_cbranch_execnz .LBB8_71
; %bb.72:                               ;   in Loop: Header=BB8_6 Depth=1
	s_or_b32 exec_lo, exec_lo, s7
.LBB8_73:                               ;   in Loop: Header=BB8_6 Depth=1
	s_delay_alu instid0(SALU_CYCLE_1) | instskip(NEXT) | instid1(VALU_DEP_1)
	s_or_b32 exec_lo, exec_lo, s6
	v_ashrrev_i32_e32 v1, 31, v0
	s_wait_storecnt 0x0
	s_barrier_signal -1
	s_barrier_wait -1
	s_and_saveexec_b32 s7, s5
	s_cbranch_execz .LBB8_81
; %bb.74:                               ;   in Loop: Header=BB8_6 Depth=1
	ds_load_b32 v2, v13 offset:3096
	v_lshl_add_u64 v[26:27], v[8:9], 4, v[16:17]
	s_mov_b32 s58, 0
	v_cmp_ne_u32_e32 vcc_lo, 0, v8
	s_wait_dscnt 0x0
	v_dual_mov_b32 v12, v36 :: v_dual_ashrrev_i32 v3, 31, v2
	s_delay_alu instid0(VALU_DEP_1) | instskip(SKIP_1) | instid1(VALU_DEP_2)
	v_lshlrev_b64_e32 v[24:25], 4, v[2:3]
	v_lshl_add_u64 v[2:3], v[0:1], 4, v[6:7]
	v_add_nc_u64_e32 v[24:25], s[44:45], v[24:25]
	s_branch .LBB8_76
.LBB8_75:                               ;   in Loop: Header=BB8_76 Depth=2
	s_or_b32 exec_lo, exec_lo, s59
	v_lshl_add_u64 v[48:49], v[12:13], 4, v[2:3]
	s_delay_alu instid0(VALU_DEP_2)
	v_fma_f64 v[50:51], 0x80000000, v[28:29], -v[30:31]
	v_fma_f64 v[30:31], v[30:31], 0, -v[28:29]
	v_add_nc_u32_e32 v12, 0x100, v12
	v_add_nc_u64_e32 v[26:27], 0x1000, v[26:27]
	global_load_b128 v[32:35], v[48:49], off
	v_cmp_ge_i32_e64 s6, v12, v47
	s_or_b32 s58, s6, s58
	s_wait_loadcnt 0x0
	v_fmamk_f64 v[28:29], v[34:35], 0x80000000, v[32:33]
	v_fmac_f64_e32 v[34:35], 0, v[32:33]
	s_delay_alu instid0(VALU_DEP_2) | instskip(NEXT) | instid1(VALU_DEP_2)
	v_add_f64_e32 v[28:29], v[50:51], v[28:29]
	v_add_f64_e32 v[30:31], v[30:31], v[34:35]
	global_store_b128 v[48:49], v[28:31], off
	s_wait_xcnt 0x0
	s_and_not1_b32 exec_lo, exec_lo, s58
	s_cbranch_execz .LBB8_81
.LBB8_76:                               ;   Parent Loop BB8_6 Depth=1
                                        ; =>  This Loop Header: Depth=2
                                        ;       Child Loop BB8_78 Depth 3
	v_mov_b64_e32 v[28:29], 0
	v_mov_b64_e32 v[30:31], 0
	s_and_saveexec_b32 s59, vcc_lo
	s_cbranch_execz .LBB8_75
; %bb.77:                               ;   in Loop: Header=BB8_76 Depth=2
	v_mov_b64_e32 v[28:29], 0
	v_mov_b64_e32 v[32:33], v[24:25]
	;; [unrolled: 1-line block ×4, first 2 shown]
	v_mov_b32_e32 v48, v8
	s_mov_b32 s60, 0
.LBB8_78:                               ;   Parent Loop BB8_6 Depth=1
                                        ;     Parent Loop BB8_76 Depth=2
                                        ; =>    This Inner Loop Header: Depth=3
	global_load_b128 v[50:53], v[32:33], off offset:-8
	global_load_b128 v[54:57], v[34:35], off offset:-8
	s_wait_xcnt 0x0
	v_add_nc_u64_e32 v[34:35], s[42:43], v[34:35]
	v_add_nc_u64_e32 v[32:33], s[46:47], v[32:33]
	v_add_nc_u32_e32 v48, -1, v48
	s_delay_alu instid0(VALU_DEP_1) | instskip(SKIP_4) | instid1(VALU_DEP_2)
	v_cmp_eq_u32_e64 s6, 0, v48
	s_or_b32 s60, s6, s60
	s_wait_loadcnt 0x0
	v_mul_f64_e32 v[58:59], v[52:53], v[56:57]
	v_mul_f64_e32 v[56:57], v[50:51], v[56:57]
	v_fma_f64 v[50:51], v[50:51], v[54:55], -v[58:59]
	s_delay_alu instid0(VALU_DEP_2) | instskip(NEXT) | instid1(VALU_DEP_2)
	v_fmac_f64_e32 v[56:57], v[52:53], v[54:55]
	v_add_f64_e32 v[30:31], v[30:31], v[50:51]
	s_delay_alu instid0(VALU_DEP_2)
	v_add_f64_e32 v[28:29], v[28:29], v[56:57]
	s_and_not1_b32 exec_lo, exec_lo, s60
	s_cbranch_execnz .LBB8_78
; %bb.79:                               ;   in Loop: Header=BB8_76 Depth=2
	s_or_b32 exec_lo, exec_lo, s60
	s_branch .LBB8_75
.LBB8_80:                               ;   in Loop: Header=BB8_6 Depth=1
                                        ; implicit-def: $sgpr7
                                        ; implicit-def: $vgpr34
                                        ; implicit-def: $vgpr2
	s_cbranch_execnz .LBB8_224
	s_branch .LBB8_227
.LBB8_81:                               ;   in Loop: Header=BB8_6 Depth=1
	s_or_b32 exec_lo, exec_lo, s7
	s_wait_storecnt 0x0
	s_barrier_signal -1
	s_barrier_wait -1
	ds_load_b32 v2, v13 offset:3096
	v_bfrev_b32_e32 v12, -2
	s_mov_b32 s58, exec_lo
	s_wait_dscnt 0x0
	v_sub_nc_u32_e32 v26, v2, v8
	v_mov_b64_e32 v[2:3], 0
	s_delay_alu instid0(VALU_DEP_2)
	v_cmpx_lt_i32_e64 v36, v26
	s_cbranch_execz .LBB8_85
; %bb.82:                               ;   in Loop: Header=BB8_6 Depth=1
	v_lshlrev_b64_e32 v[2:3], 4, v[8:9]
	v_bfrev_b32_e32 v12, -2
	v_mov_b32_e32 v27, v36
	s_mov_b32 s59, 0
	s_delay_alu instid0(VALU_DEP_3) | instskip(NEXT) | instid1(VALU_DEP_1)
	v_lshl_add_u64 v[2:3], v[0:1], 4, v[2:3]
	v_add_nc_u64_e32 v[24:25], v[20:21], v[2:3]
	v_mov_b64_e32 v[2:3], 0
.LBB8_83:                               ;   Parent Loop BB8_6 Depth=1
                                        ; =>  This Inner Loop Header: Depth=2
	global_load_b128 v[28:31], v[24:25], off offset:-8
	s_wait_xcnt 0x0
	v_add_nc_u64_e32 v[24:25], 0x1000, v[24:25]
	s_wait_loadcnt 0x0
	v_cmp_gt_f64_e32 vcc_lo, 0, v[30:31]
	v_cmp_gt_f64_e64 s6, 0, v[28:29]
	v_xor_b32_e32 v32, 0x80000000, v29
	v_xor_b32_e32 v33, 0x80000000, v31
	s_delay_alu instid0(VALU_DEP_1) | instskip(SKIP_1) | instid1(VALU_DEP_2)
	v_dual_cndmask_b32 v31, v31, v33, vcc_lo :: v_dual_cndmask_b32 v29, v29, v32, s6
	v_cmp_eq_u32_e64 s6, 0x7fffffff, v12
	v_add_f64_e32 v[28:29], v[28:29], v[30:31]
	s_delay_alu instid0(VALU_DEP_1) | instskip(SKIP_3) | instid1(VALU_DEP_2)
	v_cmp_lt_f64_e32 vcc_lo, v[2:3], v[28:29]
	s_or_b32 vcc_lo, vcc_lo, s6
	v_dual_cndmask_b32 v3, v3, v29 :: v_dual_add_nc_u32 v30, 1, v27
	v_dual_cndmask_b32 v2, v2, v28 :: v_dual_add_nc_u32 v27, 0x100, v27
	v_cndmask_b32_e32 v12, v12, v30, vcc_lo
	s_delay_alu instid0(VALU_DEP_2) | instskip(SKIP_1) | instid1(SALU_CYCLE_1)
	v_cmp_ge_i32_e64 s7, v27, v26
	s_or_b32 s59, s7, s59
	s_and_not1_b32 exec_lo, exec_lo, s59
	s_cbranch_execnz .LBB8_83
; %bb.84:                               ;   in Loop: Header=BB8_6 Depth=1
	s_or_b32 exec_lo, exec_lo, s59
.LBB8_85:                               ;   in Loop: Header=BB8_6 Depth=1
	s_delay_alu instid0(SALU_CYCLE_1) | instskip(NEXT) | instid1(SALU_CYCLE_1)
	s_or_b32 exec_lo, exec_lo, s58
	s_mov_b32 s58, exec_lo
	ds_store_b64 v41, v[2:3]
	ds_store_b32 v42, v12
	s_wait_dscnt 0x0
	s_barrier_signal -1
	s_barrier_wait -1
	v_cmpx_lt_i32_e32 1, v26
	s_cbranch_execz .LBB8_121
; %bb.86:                               ;   in Loop: Header=BB8_6 Depth=1
	s_and_saveexec_b32 s7, s0
	s_cbranch_execz .LBB8_92
; %bb.87:                               ;   in Loop: Header=BB8_6 Depth=1
	ds_load_b64 v[24:25], v41 offset:1024
	ds_load_b32 v26, v42 offset:512
	s_mov_b32 s60, exec_lo
	s_wait_dscnt 0x1
	v_cmp_lt_f64_e64 s59, v[2:3], v[24:25]
	v_cmpx_nlt_f64_e32 v[2:3], v[24:25]
	s_cbranch_execz .LBB8_89
; %bb.88:                               ;   in Loop: Header=BB8_6 Depth=1
	v_cmp_eq_f64_e32 vcc_lo, v[2:3], v[24:25]
	s_wait_dscnt 0x0
	v_cmp_gt_i32_e64 s6, v12, v26
	s_and_not1_b32 s59, s59, exec_lo
	s_and_b32 s6, vcc_lo, s6
	s_delay_alu instid0(SALU_CYCLE_1) | instskip(NEXT) | instid1(SALU_CYCLE_1)
	s_and_b32 s6, s6, exec_lo
	s_or_b32 s59, s59, s6
.LBB8_89:                               ;   in Loop: Header=BB8_6 Depth=1
	s_or_b32 exec_lo, exec_lo, s60
	s_and_saveexec_b32 s6, s59
	s_cbranch_execz .LBB8_91
; %bb.90:                               ;   in Loop: Header=BB8_6 Depth=1
	v_mov_b64_e32 v[2:3], v[24:25]
	s_wait_dscnt 0x0
	v_mov_b32_e32 v12, v26
	ds_store_b64 v41, v[24:25]
	ds_store_b32 v42, v26
.LBB8_91:                               ;   in Loop: Header=BB8_6 Depth=1
	s_or_b32 exec_lo, exec_lo, s6
.LBB8_92:                               ;   in Loop: Header=BB8_6 Depth=1
	s_delay_alu instid0(SALU_CYCLE_1)
	s_or_b32 exec_lo, exec_lo, s7
	s_wait_dscnt 0x0
	s_barrier_signal -1
	s_barrier_wait -1
	s_and_saveexec_b32 s7, s1
	s_cbranch_execz .LBB8_98
; %bb.93:                               ;   in Loop: Header=BB8_6 Depth=1
	ds_load_b64 v[24:25], v41 offset:512
	ds_load_b32 v26, v42 offset:256
	s_mov_b32 s60, exec_lo
	s_wait_dscnt 0x1
	v_cmp_lt_f64_e64 s59, v[2:3], v[24:25]
	v_cmpx_nlt_f64_e32 v[2:3], v[24:25]
	s_cbranch_execz .LBB8_95
; %bb.94:                               ;   in Loop: Header=BB8_6 Depth=1
	v_cmp_eq_f64_e32 vcc_lo, v[2:3], v[24:25]
	s_wait_dscnt 0x0
	v_cmp_gt_i32_e64 s6, v12, v26
	s_and_not1_b32 s59, s59, exec_lo
	s_and_b32 s6, vcc_lo, s6
	s_delay_alu instid0(SALU_CYCLE_1) | instskip(NEXT) | instid1(SALU_CYCLE_1)
	s_and_b32 s6, s6, exec_lo
	s_or_b32 s59, s59, s6
.LBB8_95:                               ;   in Loop: Header=BB8_6 Depth=1
	s_or_b32 exec_lo, exec_lo, s60
	s_and_saveexec_b32 s6, s59
	s_cbranch_execz .LBB8_97
; %bb.96:                               ;   in Loop: Header=BB8_6 Depth=1
	v_mov_b64_e32 v[2:3], v[24:25]
	s_wait_dscnt 0x0
	v_mov_b32_e32 v12, v26
	ds_store_b64 v41, v[24:25]
	ds_store_b32 v42, v26
.LBB8_97:                               ;   in Loop: Header=BB8_6 Depth=1
	s_or_b32 exec_lo, exec_lo, s6
.LBB8_98:                               ;   in Loop: Header=BB8_6 Depth=1
	s_delay_alu instid0(SALU_CYCLE_1)
	s_or_b32 exec_lo, exec_lo, s7
	s_wait_dscnt 0x0
	s_barrier_signal -1
	s_barrier_wait -1
	s_and_b32 exec_lo, exec_lo, s2
	s_cbranch_execz .LBB8_121
; %bb.99:                               ;   in Loop: Header=BB8_6 Depth=1
	ds_load_b64 v[24:25], v41 offset:256
	ds_load_b32 v26, v42 offset:128
	s_mov_b32 s59, exec_lo
	s_wait_dscnt 0x1
	v_cmp_lt_f64_e64 s7, v[2:3], v[24:25]
	v_cmpx_nlt_f64_e32 v[2:3], v[24:25]
	s_cbranch_execz .LBB8_101
; %bb.100:                              ;   in Loop: Header=BB8_6 Depth=1
	v_cmp_eq_f64_e32 vcc_lo, v[2:3], v[24:25]
	s_wait_dscnt 0x0
	v_cmp_gt_i32_e64 s6, v12, v26
	s_and_not1_b32 s7, s7, exec_lo
	s_and_b32 s6, vcc_lo, s6
	s_delay_alu instid0(SALU_CYCLE_1) | instskip(NEXT) | instid1(SALU_CYCLE_1)
	s_and_b32 s6, s6, exec_lo
	s_or_b32 s7, s7, s6
.LBB8_101:                              ;   in Loop: Header=BB8_6 Depth=1
	s_or_b32 exec_lo, exec_lo, s59
	s_and_saveexec_b32 s6, s7
	s_cbranch_execz .LBB8_103
; %bb.102:                              ;   in Loop: Header=BB8_6 Depth=1
	v_mov_b64_e32 v[2:3], v[24:25]
	s_wait_dscnt 0x0
	v_mov_b32_e32 v12, v26
	ds_store_b64 v41, v[24:25]
	ds_store_b32 v42, v26
.LBB8_103:                              ;   in Loop: Header=BB8_6 Depth=1
	s_or_b32 exec_lo, exec_lo, s6
	ds_load_b64 v[24:25], v41 offset:128
	s_wait_dscnt 0x1
	ds_load_b32 v26, v42 offset:64
	s_mov_b32 s59, exec_lo
	s_wait_dscnt 0x1
	v_cmp_lt_f64_e64 s7, v[2:3], v[24:25]
	v_cmpx_nlt_f64_e32 v[2:3], v[24:25]
	s_cbranch_execz .LBB8_105
; %bb.104:                              ;   in Loop: Header=BB8_6 Depth=1
	v_cmp_eq_f64_e32 vcc_lo, v[2:3], v[24:25]
	s_wait_dscnt 0x0
	v_cmp_gt_i32_e64 s6, v12, v26
	s_and_not1_b32 s7, s7, exec_lo
	s_and_b32 s6, vcc_lo, s6
	s_delay_alu instid0(SALU_CYCLE_1) | instskip(NEXT) | instid1(SALU_CYCLE_1)
	s_and_b32 s6, s6, exec_lo
	s_or_b32 s7, s7, s6
.LBB8_105:                              ;   in Loop: Header=BB8_6 Depth=1
	s_or_b32 exec_lo, exec_lo, s59
	s_and_saveexec_b32 s6, s7
	s_cbranch_execz .LBB8_107
; %bb.106:                              ;   in Loop: Header=BB8_6 Depth=1
	v_mov_b64_e32 v[2:3], v[24:25]
	s_wait_dscnt 0x0
	v_mov_b32_e32 v12, v26
	ds_store_b64 v41, v[24:25]
	ds_store_b32 v42, v26
.LBB8_107:                              ;   in Loop: Header=BB8_6 Depth=1
	s_or_b32 exec_lo, exec_lo, s6
	ds_load_b64 v[24:25], v41 offset:64
	s_wait_dscnt 0x1
	;; [unrolled: 29-line block ×5, first 2 shown]
	ds_load_b32 v26, v42 offset:4
	s_wait_dscnt 0x1
	v_cmp_eq_f64_e32 vcc_lo, v[2:3], v[24:25]
	v_cmp_lt_f64_e64 s6, v[2:3], v[24:25]
	s_wait_dscnt 0x0
	v_cmp_gt_i32_e64 s7, v12, v26
	s_and_b32 s7, vcc_lo, s7
	s_delay_alu instid0(SALU_CYCLE_1) | instskip(NEXT) | instid1(SALU_CYCLE_1)
	s_or_b32 s6, s6, s7
	s_and_b32 exec_lo, exec_lo, s6
	s_cbranch_execz .LBB8_121
; %bb.120:                              ;   in Loop: Header=BB8_6 Depth=1
	ds_store_b64 v41, v[24:25]
	ds_store_b32 v42, v26
.LBB8_121:                              ;   in Loop: Header=BB8_6 Depth=1
	s_or_b32 exec_lo, exec_lo, s58
	s_and_saveexec_b32 s6, s4
	s_cbranch_execz .LBB8_123
; %bb.122:                              ;   in Loop: Header=BB8_6 Depth=1
	ds_load_b64 v[2:3], v13
	s_wait_dscnt 0x0
	ds_store_b64 v13, v[2:3] offset:3088
.LBB8_123:                              ;   in Loop: Header=BB8_6 Depth=1
	s_or_b32 exec_lo, exec_lo, s6
	ds_load_b32 v2, v13 offset:3096
	s_wait_dscnt 0x0
	v_cmp_le_i32_e32 vcc_lo, s52, v2
	v_readfirstlane_b32 s6, v2
	s_cbranch_vccnz .LBB8_168
; %bb.124:                              ;   in Loop: Header=BB8_6 Depth=1
	v_mov_b64_e32 v[2:3], 0
	v_bfrev_b32_e32 v12, -2
	s_not_b32 s7, s6
	s_mov_b32 s59, exec_lo
	s_add_co_i32 s58, s22, s7
	s_delay_alu instid0(SALU_CYCLE_1)
	v_cmpx_gt_i32_e64 s58, v36
	s_cbranch_execz .LBB8_128
; %bb.125:                              ;   in Loop: Header=BB8_6 Depth=1
	v_lshlrev_b64_e32 v[2:3], 4, v[0:1]
	s_ashr_i32 s7, s6, 31
	v_bfrev_b32_e32 v12, -2
	v_mov_b32_e32 v1, v36
	s_mov_b32 s60, 0
	s_delay_alu instid0(VALU_DEP_3) | instskip(NEXT) | instid1(VALU_DEP_1)
	v_lshl_add_u64 v[2:3], s[6:7], 4, v[2:3]
	v_add_nc_u64_e32 v[24:25], v[18:19], v[2:3]
	v_mov_b64_e32 v[2:3], 0
.LBB8_126:                              ;   Parent Loop BB8_6 Depth=1
                                        ; =>  This Inner Loop Header: Depth=2
	global_load_b128 v[26:29], v[24:25], off
	s_wait_xcnt 0x0
	v_add_nc_u64_e32 v[24:25], 0x1000, v[24:25]
	s_wait_loadcnt 0x0
	v_cmp_gt_f64_e32 vcc_lo, 0, v[28:29]
	v_cmp_gt_f64_e64 s6, 0, v[26:27]
	v_xor_b32_e32 v30, 0x80000000, v27
	v_xor_b32_e32 v31, 0x80000000, v29
	s_delay_alu instid0(VALU_DEP_1) | instskip(SKIP_1) | instid1(VALU_DEP_2)
	v_dual_cndmask_b32 v29, v29, v31, vcc_lo :: v_dual_cndmask_b32 v27, v27, v30, s6
	v_cmp_eq_u32_e64 s6, 0x7fffffff, v12
	v_add_f64_e32 v[26:27], v[26:27], v[28:29]
	s_delay_alu instid0(VALU_DEP_1) | instskip(SKIP_3) | instid1(VALU_DEP_2)
	v_cmp_lt_f64_e32 vcc_lo, v[2:3], v[26:27]
	s_or_b32 vcc_lo, vcc_lo, s6
	v_dual_cndmask_b32 v3, v3, v27 :: v_dual_add_nc_u32 v28, 1, v1
	v_dual_cndmask_b32 v2, v2, v26 :: v_dual_add_nc_u32 v1, 0x100, v1
	v_cndmask_b32_e32 v12, v12, v28, vcc_lo
	s_delay_alu instid0(VALU_DEP_2) | instskip(SKIP_1) | instid1(SALU_CYCLE_1)
	v_cmp_le_i32_e64 s7, s58, v1
	s_or_b32 s60, s7, s60
	s_and_not1_b32 exec_lo, exec_lo, s60
	s_cbranch_execnz .LBB8_126
; %bb.127:                              ;   in Loop: Header=BB8_6 Depth=1
	s_or_b32 exec_lo, exec_lo, s60
.LBB8_128:                              ;   in Loop: Header=BB8_6 Depth=1
	s_delay_alu instid0(SALU_CYCLE_1)
	s_or_b32 exec_lo, exec_lo, s59
	s_cmp_lt_i32 s58, 2
	ds_store_b64 v41, v[2:3]
	ds_store_b32 v42, v12
	s_wait_dscnt 0x0
	s_barrier_signal -1
	s_barrier_wait -1
	s_cbranch_scc1 .LBB8_165
; %bb.129:                              ;   in Loop: Header=BB8_6 Depth=1
	s_and_saveexec_b32 s7, s0
	s_cbranch_execz .LBB8_135
; %bb.130:                              ;   in Loop: Header=BB8_6 Depth=1
	ds_load_b64 v[24:25], v41 offset:1024
	ds_load_b32 v1, v42 offset:512
	s_mov_b32 s59, exec_lo
	s_wait_dscnt 0x1
	v_cmp_lt_f64_e64 s58, v[2:3], v[24:25]
	v_cmpx_nlt_f64_e32 v[2:3], v[24:25]
	s_cbranch_execz .LBB8_132
; %bb.131:                              ;   in Loop: Header=BB8_6 Depth=1
	v_cmp_eq_f64_e32 vcc_lo, v[2:3], v[24:25]
	s_wait_dscnt 0x0
	v_cmp_gt_i32_e64 s6, v12, v1
	s_and_not1_b32 s58, s58, exec_lo
	s_and_b32 s6, vcc_lo, s6
	s_delay_alu instid0(SALU_CYCLE_1) | instskip(NEXT) | instid1(SALU_CYCLE_1)
	s_and_b32 s6, s6, exec_lo
	s_or_b32 s58, s58, s6
.LBB8_132:                              ;   in Loop: Header=BB8_6 Depth=1
	s_or_b32 exec_lo, exec_lo, s59
	s_and_saveexec_b32 s6, s58
	s_cbranch_execz .LBB8_134
; %bb.133:                              ;   in Loop: Header=BB8_6 Depth=1
	v_mov_b64_e32 v[2:3], v[24:25]
	s_wait_dscnt 0x0
	v_mov_b32_e32 v12, v1
	ds_store_b64 v41, v[24:25]
	ds_store_b32 v42, v1
.LBB8_134:                              ;   in Loop: Header=BB8_6 Depth=1
	s_or_b32 exec_lo, exec_lo, s6
.LBB8_135:                              ;   in Loop: Header=BB8_6 Depth=1
	s_delay_alu instid0(SALU_CYCLE_1)
	s_or_b32 exec_lo, exec_lo, s7
	s_wait_dscnt 0x0
	s_barrier_signal -1
	s_barrier_wait -1
	s_and_saveexec_b32 s7, s1
	s_cbranch_execz .LBB8_141
; %bb.136:                              ;   in Loop: Header=BB8_6 Depth=1
	ds_load_b64 v[24:25], v41 offset:512
	ds_load_b32 v1, v42 offset:256
	s_mov_b32 s59, exec_lo
	s_wait_dscnt 0x1
	v_cmp_lt_f64_e64 s58, v[2:3], v[24:25]
	v_cmpx_nlt_f64_e32 v[2:3], v[24:25]
	s_cbranch_execz .LBB8_138
; %bb.137:                              ;   in Loop: Header=BB8_6 Depth=1
	v_cmp_eq_f64_e32 vcc_lo, v[2:3], v[24:25]
	s_wait_dscnt 0x0
	v_cmp_gt_i32_e64 s6, v12, v1
	s_and_not1_b32 s58, s58, exec_lo
	s_and_b32 s6, vcc_lo, s6
	s_delay_alu instid0(SALU_CYCLE_1) | instskip(NEXT) | instid1(SALU_CYCLE_1)
	s_and_b32 s6, s6, exec_lo
	s_or_b32 s58, s58, s6
.LBB8_138:                              ;   in Loop: Header=BB8_6 Depth=1
	s_or_b32 exec_lo, exec_lo, s59
	s_and_saveexec_b32 s6, s58
	s_cbranch_execz .LBB8_140
; %bb.139:                              ;   in Loop: Header=BB8_6 Depth=1
	v_mov_b64_e32 v[2:3], v[24:25]
	s_wait_dscnt 0x0
	v_mov_b32_e32 v12, v1
	ds_store_b64 v41, v[24:25]
	ds_store_b32 v42, v1
.LBB8_140:                              ;   in Loop: Header=BB8_6 Depth=1
	s_or_b32 exec_lo, exec_lo, s6
.LBB8_141:                              ;   in Loop: Header=BB8_6 Depth=1
	s_delay_alu instid0(SALU_CYCLE_1)
	s_or_b32 exec_lo, exec_lo, s7
	s_wait_dscnt 0x0
	s_barrier_signal -1
	s_barrier_wait -1
	s_and_saveexec_b32 s58, s2
	s_cbranch_execz .LBB8_164
; %bb.142:                              ;   in Loop: Header=BB8_6 Depth=1
	ds_load_b64 v[24:25], v41 offset:256
	ds_load_b32 v1, v42 offset:128
	s_mov_b32 s59, exec_lo
	s_wait_dscnt 0x1
	v_cmp_lt_f64_e64 s7, v[2:3], v[24:25]
	v_cmpx_nlt_f64_e32 v[2:3], v[24:25]
	s_cbranch_execz .LBB8_144
; %bb.143:                              ;   in Loop: Header=BB8_6 Depth=1
	v_cmp_eq_f64_e32 vcc_lo, v[2:3], v[24:25]
	s_wait_dscnt 0x0
	v_cmp_gt_i32_e64 s6, v12, v1
	s_and_not1_b32 s7, s7, exec_lo
	s_and_b32 s6, vcc_lo, s6
	s_delay_alu instid0(SALU_CYCLE_1) | instskip(NEXT) | instid1(SALU_CYCLE_1)
	s_and_b32 s6, s6, exec_lo
	s_or_b32 s7, s7, s6
.LBB8_144:                              ;   in Loop: Header=BB8_6 Depth=1
	s_or_b32 exec_lo, exec_lo, s59
	s_and_saveexec_b32 s6, s7
	s_cbranch_execz .LBB8_146
; %bb.145:                              ;   in Loop: Header=BB8_6 Depth=1
	v_mov_b64_e32 v[2:3], v[24:25]
	s_wait_dscnt 0x0
	v_mov_b32_e32 v12, v1
	ds_store_b64 v41, v[24:25]
	ds_store_b32 v42, v1
.LBB8_146:                              ;   in Loop: Header=BB8_6 Depth=1
	s_or_b32 exec_lo, exec_lo, s6
	ds_load_b64 v[24:25], v41 offset:128
	s_wait_dscnt 0x1
	ds_load_b32 v1, v42 offset:64
	s_mov_b32 s59, exec_lo
	s_wait_dscnt 0x1
	v_cmp_lt_f64_e64 s7, v[2:3], v[24:25]
	v_cmpx_nlt_f64_e32 v[2:3], v[24:25]
	s_cbranch_execz .LBB8_148
; %bb.147:                              ;   in Loop: Header=BB8_6 Depth=1
	v_cmp_eq_f64_e32 vcc_lo, v[2:3], v[24:25]
	s_wait_dscnt 0x0
	v_cmp_gt_i32_e64 s6, v12, v1
	s_and_not1_b32 s7, s7, exec_lo
	s_and_b32 s6, vcc_lo, s6
	s_delay_alu instid0(SALU_CYCLE_1) | instskip(NEXT) | instid1(SALU_CYCLE_1)
	s_and_b32 s6, s6, exec_lo
	s_or_b32 s7, s7, s6
.LBB8_148:                              ;   in Loop: Header=BB8_6 Depth=1
	s_or_b32 exec_lo, exec_lo, s59
	s_and_saveexec_b32 s6, s7
	s_cbranch_execz .LBB8_150
; %bb.149:                              ;   in Loop: Header=BB8_6 Depth=1
	v_mov_b64_e32 v[2:3], v[24:25]
	s_wait_dscnt 0x0
	v_mov_b32_e32 v12, v1
	ds_store_b64 v41, v[24:25]
	ds_store_b32 v42, v1
.LBB8_150:                              ;   in Loop: Header=BB8_6 Depth=1
	s_or_b32 exec_lo, exec_lo, s6
	ds_load_b64 v[24:25], v41 offset:64
	s_wait_dscnt 0x1
	;; [unrolled: 29-line block ×5, first 2 shown]
	ds_load_b32 v1, v42 offset:4
	s_wait_dscnt 0x1
	v_cmp_eq_f64_e32 vcc_lo, v[2:3], v[24:25]
	v_cmp_lt_f64_e64 s6, v[2:3], v[24:25]
	s_wait_dscnt 0x0
	v_cmp_gt_i32_e64 s7, v12, v1
	s_and_b32 s7, vcc_lo, s7
	s_delay_alu instid0(SALU_CYCLE_1) | instskip(NEXT) | instid1(SALU_CYCLE_1)
	s_or_b32 s6, s6, s7
	s_and_b32 exec_lo, exec_lo, s6
	s_cbranch_execz .LBB8_164
; %bb.163:                              ;   in Loop: Header=BB8_6 Depth=1
	ds_store_b64 v41, v[24:25]
	ds_store_b32 v42, v1
.LBB8_164:                              ;   in Loop: Header=BB8_6 Depth=1
	s_or_b32 exec_lo, exec_lo, s58
.LBB8_165:                              ;   in Loop: Header=BB8_6 Depth=1
	s_and_saveexec_b32 s6, s4
	s_cbranch_execz .LBB8_167
; %bb.166:                              ;   in Loop: Header=BB8_6 Depth=1
	ds_load_b64 v[2:3], v13 offset:3088
	ds_load_b64 v[24:25], v13
	s_wait_dscnt 0x0
	v_cmp_lt_f64_e32 vcc_lo, v[2:3], v[24:25]
	v_dual_cndmask_b32 v3, v3, v25 :: v_dual_cndmask_b32 v2, v2, v24
	ds_store_b64 v13, v[2:3] offset:3088
.LBB8_167:                              ;   in Loop: Header=BB8_6 Depth=1
	s_or_b32 exec_lo, exec_lo, s6
.LBB8_168:                              ;   in Loop: Header=BB8_6 Depth=1
	s_wait_dscnt 0x0
	s_barrier_signal -1
	s_barrier_wait -1
	ds_load_b128 v[24:27], v13 offset:3072
	ds_load_b64 v[2:3], v13 offset:3088
	s_wait_dscnt 0x0
	v_div_scale_f64 v[28:29], null, v[2:3], v[2:3], v[26:27]
	s_delay_alu instid0(VALU_DEP_1) | instskip(SKIP_1) | instid1(TRANS32_DEP_1)
	v_rcp_f64_e32 v[30:31], v[28:29]
	v_nop
	v_fma_f64 v[32:33], -v[28:29], v[30:31], 1.0
	s_delay_alu instid0(VALU_DEP_1) | instskip(NEXT) | instid1(VALU_DEP_1)
	v_fmac_f64_e32 v[30:31], v[30:31], v[32:33]
	v_fma_f64 v[32:33], -v[28:29], v[30:31], 1.0
	s_delay_alu instid0(VALU_DEP_1) | instskip(SKIP_1) | instid1(VALU_DEP_1)
	v_fmac_f64_e32 v[30:31], v[30:31], v[32:33]
	v_div_scale_f64 v[32:33], vcc_lo, v[26:27], v[2:3], v[26:27]
	v_mul_f64_e32 v[34:35], v[32:33], v[30:31]
	s_delay_alu instid0(VALU_DEP_1) | instskip(NEXT) | instid1(VALU_DEP_1)
	v_fma_f64 v[28:29], -v[28:29], v[34:35], v[32:33]
	v_div_fmas_f64 v[28:29], v[28:29], v[30:31], v[34:35]
	v_mul_f64_e32 v[30:31], 0x3fe47e0f66afed07, v[26:27]
	s_delay_alu instid0(VALU_DEP_2) | instskip(NEXT) | instid1(VALU_DEP_1)
	v_div_fixup_f64 v[26:27], v[28:29], v[2:3], v[26:27]
	v_mul_f64_e32 v[26:27], v[30:31], v[26:27]
	s_delay_alu instid0(VALU_DEP_1)
	v_cmp_ge_f64_e32 vcc_lo, v[24:25], v[26:27]
	s_cbranch_vccnz .LBB8_175
; %bb.169:                              ;   in Loop: Header=BB8_6 Depth=1
	ds_load_b32 v34, v13 offset:3096
	v_mul_f64_e32 v[2:3], 0x3fe47e0f66afed07, v[2:3]
	s_mov_b32 s58, 0
	s_mov_b32 s6, exec_lo
	s_wait_dscnt 0x0
	v_add_nc_u32_e32 v1, v34, v0
	global_load_b128 v[24:27], v1, s[12:13] scale_offset
	s_wait_loadcnt 0x0
	v_cmp_gt_f64_e32 vcc_lo, 0, v[24:25]
	v_xor_b32_e32 v1, 0x80000000, v25
	v_xor_b32_e32 v12, 0x80000000, v27
	s_delay_alu instid0(VALU_DEP_2) | instskip(SKIP_1) | instid1(VALU_DEP_3)
	v_cndmask_b32_e32 v25, v25, v1, vcc_lo
	v_cmp_gt_f64_e32 vcc_lo, 0, v[26:27]
	v_dual_cndmask_b32 v27, v27, v12 :: v_dual_mov_b32 v12, 2
	s_delay_alu instid0(VALU_DEP_1) | instskip(NEXT) | instid1(VALU_DEP_1)
	v_add_f64_e32 v[24:25], v[24:25], v[26:27]
	v_cmpx_ge_f64_e32 v[24:25], v[2:3]
	s_cbranch_execz .LBB8_174
; %bb.170:                              ;   in Loop: Header=BB8_6 Depth=1
	s_and_saveexec_b32 s7, s5
	s_cbranch_execz .LBB8_173
; %bb.171:                              ;   in Loop: Header=BB8_6 Depth=1
	v_mad_u32 v2, s55, v8, v36
	v_add3_u32 v0, v36, v8, v0
	v_mov_b32_e32 v12, v36
	s_mov_b32 s5, 0
	s_delay_alu instid0(VALU_DEP_2) | instskip(NEXT) | instid1(VALU_DEP_1)
	v_dual_ashrrev_i32 v1, 31, v0 :: v_dual_ashrrev_i32 v3, 31, v2
	v_lshl_add_u64 v[0:1], v[0:1], 4, s[40:41]
	s_delay_alu instid0(VALU_DEP_2)
	v_lshl_add_u64 v[2:3], v[2:3], 4, s[40:41]
.LBB8_172:                              ;   Parent Loop BB8_6 Depth=1
                                        ; =>  This Inner Loop Header: Depth=2
	global_load_b128 v[24:27], v[0:1], off
	v_add_nc_u32_e32 v12, 0x100, v12
	s_wait_xcnt 0x0
	v_add_nc_u64_e32 v[0:1], 0x1000, v[0:1]
	s_delay_alu instid0(VALU_DEP_2)
	v_cmp_ge_i32_e32 vcc_lo, v12, v47
	s_or_b32 s5, vcc_lo, s5
	s_wait_loadcnt 0x0
	global_store_b128 v[2:3], v[24:27], off
	s_wait_xcnt 0x0
	v_add_nc_u64_e32 v[2:3], 0x1000, v[2:3]
	s_and_not1_b32 exec_lo, exec_lo, s5
	s_cbranch_execnz .LBB8_172
.LBB8_173:                              ;   in Loop: Header=BB8_6 Depth=1
	s_or_b32 exec_lo, exec_lo, s7
	v_mov_b32_e32 v12, 1
	s_mov_b32 s58, exec_lo
	s_wait_storecnt 0x0
	s_barrier_signal -1
	s_barrier_wait -1
.LBB8_174:                              ;   in Loop: Header=BB8_6 Depth=1
	s_or_b32 exec_lo, exec_lo, s6
	s_branch .LBB8_176
.LBB8_175:                              ;   in Loop: Header=BB8_6 Depth=1
	v_dual_mov_b32 v12, 1 :: v_dual_mov_b32 v34, v8
	s_mov_b32 s58, -1
.LBB8_176:                              ;   in Loop: Header=BB8_6 Depth=1
	s_delay_alu instid0(VALU_DEP_1) | instskip(SKIP_1) | instid1(VALU_DEP_1)
	v_add_nc_u32_e32 v0, v12, v8
	s_mov_b32 s5, exec_lo
	v_add_nc_u32_e32 v1, -1, v0
	s_delay_alu instid0(VALU_DEP_1)
	v_cmpx_ne_u32_e64 v34, v1
	s_cbranch_execz .LBB8_192
; %bb.177:                              ;   in Loop: Header=BB8_6 Depth=1
	s_and_saveexec_b32 s6, s4
	s_cbranch_execz .LBB8_179
; %bb.178:                              ;   in Loop: Header=BB8_6 Depth=1
	v_mul_lo_u32 v2, v1, s53
	global_load_b128 v[24:27], v2, s[8:9] scale_offset
	s_wait_xcnt 0x0
	v_mul_lo_u32 v2, v34, s53
	s_wait_loadcnt 0x0
	global_store_b128 v2, v[24:27], s[8:9] scale_offset
.LBB8_179:                              ;   in Loop: Header=BB8_6 Depth=1
	s_wait_xcnt 0x0
	s_or_b32 exec_lo, exec_lo, s6
	v_sub_nc_u32_e32 v2, v34, v0
	s_mov_b32 s6, exec_lo
	s_delay_alu instid0(VALU_DEP_1)
	v_cmpx_lt_i32_e64 v36, v2
	s_cbranch_execz .LBB8_182
; %bb.180:                              ;   in Loop: Header=BB8_6 Depth=1
	v_add3_u32 v3, v36, v12, v8
	v_mad_u32 v24, v1, s21, v0
	v_mov_b32_e32 v25, v36
	s_mov_b32 s7, 0
	s_delay_alu instid0(VALU_DEP_3)
	v_mad_u32 v3, s21, v3, v34
.LBB8_181:                              ;   Parent Loop BB8_6 Depth=1
                                        ; =>  This Inner Loop Header: Depth=2
	s_delay_alu instid0(VALU_DEP_2)
	v_add_nc_u32_e32 v26, v24, v25
	v_add_nc_u32_e32 v25, 0x100, v25
	global_load_b128 v[26:29], v26, s[8:9] scale_offset
	v_cmp_ge_i32_e32 vcc_lo, v25, v2
	s_or_b32 s7, vcc_lo, s7
	s_wait_loadcnt 0x0
	global_store_b128 v3, v[26:29], s[8:9] scale_offset
	s_wait_xcnt 0x0
	v_add_nc_u32_e32 v3, s38, v3
	s_and_not1_b32 exec_lo, exec_lo, s7
	s_cbranch_execnz .LBB8_181
.LBB8_182:                              ;   in Loop: Header=BB8_6 Depth=1
	s_or_b32 exec_lo, exec_lo, s6
	v_xad_u32 v2, v34, -1, s22
	s_mov_b32 s6, exec_lo
	s_delay_alu instid0(VALU_DEP_1)
	v_cmpx_lt_i32_e64 v36, v2
	s_cbranch_execz .LBB8_185
; %bb.183:                              ;   in Loop: Header=BB8_6 Depth=1
	v_mul_lo_u32 v3, v1, s21
	v_mad_u32 v1, s53, v34, 1
	v_mov_b32_e32 v24, v36
	s_mov_b32 s7, 0
	s_delay_alu instid0(VALU_DEP_3)
	v_add3_u32 v3, v34, v3, 1
.LBB8_184:                              ;   Parent Loop BB8_6 Depth=1
                                        ; =>  This Inner Loop Header: Depth=2
	s_delay_alu instid0(VALU_DEP_1) | instskip(SKIP_4) | instid1(VALU_DEP_1)
	v_add_nc_u32_e32 v25, v3, v24
	global_load_b128 v[26:29], v25, s[8:9] scale_offset
	s_wait_xcnt 0x0
	v_add_nc_u32_e32 v25, v1, v24
	v_add_nc_u32_e32 v24, 0x100, v24
	v_cmp_ge_i32_e32 vcc_lo, v24, v2
	s_or_b32 s7, vcc_lo, s7
	s_wait_loadcnt 0x0
	global_store_b128 v25, v[26:29], s[8:9] scale_offset
	s_wait_xcnt 0x0
	s_and_not1_b32 exec_lo, exec_lo, s7
	s_cbranch_execnz .LBB8_184
.LBB8_185:                              ;   in Loop: Header=BB8_6 Depth=1
	s_or_b32 exec_lo, exec_lo, s6
	s_delay_alu instid0(SALU_CYCLE_1)
	s_mov_b32 s6, exec_lo
	s_wait_storecnt 0x0
	s_barrier_signal -1
	s_barrier_wait -1
	v_cmpx_lt_u32_e64 v36, v8
	s_cbranch_execz .LBB8_188
; %bb.186:                              ;   in Loop: Header=BB8_6 Depth=1
	v_dual_mov_b32 v2, v11 :: v_dual_ashrrev_i32 v1, 31, v0
	v_mov_b32_e32 v24, v36
	s_mov_b32 s7, 0
.LBB8_187:                              ;   Parent Loop BB8_6 Depth=1
                                        ; =>  This Inner Loop Header: Depth=2
	s_delay_alu instid0(VALU_DEP_2) | instskip(NEXT) | instid1(VALU_DEP_2)
	v_ashrrev_i32_e32 v3, 31, v2
	v_add_nc_u32_e32 v24, 0x100, v24
	s_delay_alu instid0(VALU_DEP_2) | instskip(SKIP_1) | instid1(VALU_DEP_3)
	v_add_nc_u64_e32 v[26:27], v[2:3], v[0:1]
	v_add_nc_u32_e32 v3, v34, v2
	v_cmp_ge_u32_e32 vcc_lo, v24, v8
	v_add_nc_u32_e32 v2, s38, v2
	s_or_b32 s7, vcc_lo, s7
	s_delay_alu instid0(VALU_DEP_4)
	v_lshl_add_u64 v[48:49], v[26:27], 4, s[8:9]
	s_clause 0x1
	global_load_b128 v[26:29], v[48:49], off offset:-16
	global_load_b128 v[30:33], v3, s[8:9] scale_offset
	s_wait_loadcnt 0x1
	ds_store_2addr_b64 v40, v[26:27], v[28:29] offset1:1
	s_wait_loadcnt 0x0
	s_clause 0x1
	global_store_b128 v[48:49], v[30:33], off offset:-16
	global_store_b128 v3, v[26:29], s[8:9] scale_offset
	s_wait_xcnt 0x0
	s_and_not1_b32 exec_lo, exec_lo, s7
	s_cbranch_execnz .LBB8_187
.LBB8_188:                              ;   in Loop: Header=BB8_6 Depth=1
	s_or_b32 exec_lo, exec_lo, s6
	v_cmp_lt_u32_e32 vcc_lo, v36, v0
	s_and_b32 exec_lo, exec_lo, vcc_lo
	s_cbranch_execz .LBB8_191
; %bb.189:                              ;   in Loop: Header=BB8_6 Depth=1
	v_add_nc_u64_e32 v[2:3], v[14:15], v[12:13]
	v_dual_mov_b32 v1, v36 :: v_dual_add_nc_u32 v24, v14, v34
	s_mov_b32 s59, 0
	s_mov_b64 s[6:7], s[12:13]
	s_delay_alu instid0(VALU_DEP_1) | instskip(NEXT) | instid1(VALU_DEP_3)
	v_ashrrev_i32_e32 v25, 31, v24
	v_add_nc_u64_e32 v[26:27], v[2:3], v[8:9]
	s_delay_alu instid0(VALU_DEP_2) | instskip(NEXT) | instid1(VALU_DEP_2)
	v_lshlrev_b64_e32 v[2:3], 4, v[24:25]
	v_lshl_add_u64 v[24:25], v[26:27], 4, -16
.LBB8_190:                              ;   Parent Loop BB8_6 Depth=1
                                        ; =>  This Inner Loop Header: Depth=2
	s_delay_alu instid0(VALU_DEP_1) | instskip(NEXT) | instid1(VALU_DEP_3)
	v_add_nc_u64_e32 v[48:49], s[6:7], v[24:25]
	v_add_nc_u64_e32 v[50:51], s[6:7], v[2:3]
	v_add_nc_u32_e32 v1, 0x100, v1
	s_add_nc_u64 s[6:7], s[6:7], s[48:49]
	s_clause 0x1
	global_load_b128 v[26:29], v[48:49], off
	global_load_b128 v[30:33], v[50:51], off
	v_cmp_ge_u32_e32 vcc_lo, v1, v0
	s_or_b32 s59, vcc_lo, s59
	s_wait_loadcnt 0x1
	ds_store_2addr_b64 v39, v[26:27], v[28:29] offset1:1
	s_wait_loadcnt 0x0
	s_clause 0x1
	global_store_b128 v[48:49], v[30:33], off
	global_store_b128 v[50:51], v[26:29], off
	s_wait_xcnt 0x0
	s_and_not1_b32 exec_lo, exec_lo, s59
	s_cbranch_execnz .LBB8_190
.LBB8_191:                              ;   in Loop: Header=BB8_6 Depth=1
	s_wait_storecnt_dscnt 0x0
	s_barrier_signal -1
	s_barrier_wait -1
.LBB8_192:                              ;   in Loop: Header=BB8_6 Depth=1
	s_or_b32 exec_lo, exec_lo, s5
	s_xor_b32 s5, s58, -1
	s_delay_alu instid0(SALU_CYCLE_1) | instskip(NEXT) | instid1(SALU_CYCLE_1)
	s_and_saveexec_b32 s6, s5
	s_xor_b32 s5, exec_lo, s6
	s_cbranch_execz .LBB8_212
; %bb.193:                              ;   in Loop: Header=BB8_6 Depth=1
	s_mov_b32 s6, exec_lo
	v_cmpx_gt_i32_e64 s54, v8
	s_cbranch_execz .LBB8_209
; %bb.194:                              ;   in Loop: Header=BB8_6 Depth=1
	global_load_b128 v[0:3], v[22:23], off offset:16
	v_mul_lo_u32 v12, v45, s22
                                        ; implicit-def: $vgpr24_vgpr25
                                        ; implicit-def: $vgpr26_vgpr27
	s_delay_alu instid0(VALU_DEP_1)
	v_lshl_add_u64 v[4:5], v[12:13], 4, v[6:7]
	global_load_b128 v[4:7], v[4:5], off offset:16
	s_wait_loadcnt 0x1
	v_cmp_ngt_f64_e64 s7, |v[0:1]|, |v[2:3]|
	s_wait_xcnt 0x0
	s_and_saveexec_b32 s58, s7
	s_delay_alu instid0(SALU_CYCLE_1)
	s_xor_b32 s58, exec_lo, s58
	s_cbranch_execz .LBB8_196
; %bb.195:                              ;   in Loop: Header=BB8_6 Depth=1
	v_div_scale_f64 v[24:25], null, v[2:3], v[2:3], v[0:1]
	v_div_scale_f64 v[30:31], vcc_lo, v[0:1], v[2:3], v[0:1]
	s_delay_alu instid0(VALU_DEP_2) | instskip(SKIP_1) | instid1(TRANS32_DEP_1)
	v_rcp_f64_e32 v[26:27], v[24:25]
	v_nop
	v_fma_f64 v[28:29], -v[24:25], v[26:27], 1.0
	s_delay_alu instid0(VALU_DEP_1) | instskip(NEXT) | instid1(VALU_DEP_1)
	v_fmac_f64_e32 v[26:27], v[26:27], v[28:29]
	v_fma_f64 v[28:29], -v[24:25], v[26:27], 1.0
	s_delay_alu instid0(VALU_DEP_1) | instskip(NEXT) | instid1(VALU_DEP_1)
	v_fmac_f64_e32 v[26:27], v[26:27], v[28:29]
	v_mul_f64_e32 v[28:29], v[30:31], v[26:27]
	s_delay_alu instid0(VALU_DEP_1) | instskip(NEXT) | instid1(VALU_DEP_1)
	v_fma_f64 v[24:25], -v[24:25], v[28:29], v[30:31]
	v_div_fmas_f64 v[24:25], v[24:25], v[26:27], v[28:29]
	s_delay_alu instid0(VALU_DEP_1) | instskip(NEXT) | instid1(VALU_DEP_1)
	v_div_fixup_f64 v[24:25], v[24:25], v[2:3], v[0:1]
	v_fma_f64 v[26:27], v[0:1], v[24:25], v[2:3]
	s_delay_alu instid0(VALU_DEP_1) | instskip(SKIP_1) | instid1(VALU_DEP_2)
	v_div_scale_f64 v[28:29], null, v[26:27], v[26:27], 1.0
	v_div_scale_f64 v[46:47], vcc_lo, 1.0, v[26:27], 1.0
	v_rcp_f64_e32 v[30:31], v[28:29]
	v_nop
	s_delay_alu instid0(TRANS32_DEP_1) | instskip(NEXT) | instid1(VALU_DEP_1)
	v_fma_f64 v[32:33], -v[28:29], v[30:31], 1.0
	v_fmac_f64_e32 v[30:31], v[30:31], v[32:33]
	s_delay_alu instid0(VALU_DEP_1) | instskip(NEXT) | instid1(VALU_DEP_1)
	v_fma_f64 v[32:33], -v[28:29], v[30:31], 1.0
	v_fmac_f64_e32 v[30:31], v[30:31], v[32:33]
	s_delay_alu instid0(VALU_DEP_1) | instskip(NEXT) | instid1(VALU_DEP_1)
	v_mul_f64_e32 v[32:33], v[46:47], v[30:31]
	v_fma_f64 v[28:29], -v[28:29], v[32:33], v[46:47]
	s_delay_alu instid0(VALU_DEP_1) | instskip(SKIP_3) | instid1(VALU_DEP_3)
	v_div_fmas_f64 v[28:29], v[28:29], v[30:31], v[32:33]
	s_wait_loadcnt 0x0
	v_fma_f64 v[30:31], v[24:25], v[4:5], v[6:7]
	v_fma_f64 v[4:5], v[24:25], v[6:7], -v[4:5]
	v_div_fixup_f64 v[26:27], v[28:29], v[26:27], 1.0
	s_delay_alu instid0(VALU_DEP_1) | instskip(NEXT) | instid1(VALU_DEP_3)
	v_mul_f64_e32 v[24:25], v[30:31], v[26:27]
	v_mul_f64_e32 v[26:27], v[26:27], v[4:5]
                                        ; implicit-def: $vgpr6_vgpr7
.LBB8_196:                              ;   in Loop: Header=BB8_6 Depth=1
	s_and_not1_saveexec_b32 s58, s58
	s_cbranch_execz .LBB8_198
; %bb.197:                              ;   in Loop: Header=BB8_6 Depth=1
	v_div_scale_f64 v[24:25], null, v[0:1], v[0:1], v[2:3]
	v_div_scale_f64 v[30:31], vcc_lo, v[2:3], v[0:1], v[2:3]
	s_delay_alu instid0(VALU_DEP_2) | instskip(SKIP_1) | instid1(TRANS32_DEP_1)
	v_rcp_f64_e32 v[26:27], v[24:25]
	v_nop
	v_fma_f64 v[28:29], -v[24:25], v[26:27], 1.0
	s_delay_alu instid0(VALU_DEP_1) | instskip(NEXT) | instid1(VALU_DEP_1)
	v_fmac_f64_e32 v[26:27], v[26:27], v[28:29]
	v_fma_f64 v[28:29], -v[24:25], v[26:27], 1.0
	s_delay_alu instid0(VALU_DEP_1) | instskip(NEXT) | instid1(VALU_DEP_1)
	v_fmac_f64_e32 v[26:27], v[26:27], v[28:29]
	v_mul_f64_e32 v[28:29], v[30:31], v[26:27]
	s_delay_alu instid0(VALU_DEP_1) | instskip(NEXT) | instid1(VALU_DEP_1)
	v_fma_f64 v[24:25], -v[24:25], v[28:29], v[30:31]
	v_div_fmas_f64 v[24:25], v[24:25], v[26:27], v[28:29]
	s_delay_alu instid0(VALU_DEP_1) | instskip(NEXT) | instid1(VALU_DEP_1)
	v_div_fixup_f64 v[24:25], v[24:25], v[0:1], v[2:3]
	v_fma_f64 v[26:27], v[2:3], v[24:25], v[0:1]
	s_delay_alu instid0(VALU_DEP_1) | instskip(SKIP_1) | instid1(VALU_DEP_2)
	v_div_scale_f64 v[28:29], null, v[26:27], v[26:27], 1.0
	v_div_scale_f64 v[46:47], vcc_lo, 1.0, v[26:27], 1.0
	v_rcp_f64_e32 v[30:31], v[28:29]
	v_nop
	s_delay_alu instid0(TRANS32_DEP_1) | instskip(NEXT) | instid1(VALU_DEP_1)
	v_fma_f64 v[32:33], -v[28:29], v[30:31], 1.0
	v_fmac_f64_e32 v[30:31], v[30:31], v[32:33]
	s_delay_alu instid0(VALU_DEP_1) | instskip(NEXT) | instid1(VALU_DEP_1)
	v_fma_f64 v[32:33], -v[28:29], v[30:31], 1.0
	v_fmac_f64_e32 v[30:31], v[30:31], v[32:33]
	s_delay_alu instid0(VALU_DEP_1) | instskip(NEXT) | instid1(VALU_DEP_1)
	v_mul_f64_e32 v[32:33], v[46:47], v[30:31]
	v_fma_f64 v[28:29], -v[28:29], v[32:33], v[46:47]
	s_delay_alu instid0(VALU_DEP_1) | instskip(SKIP_3) | instid1(VALU_DEP_3)
	v_div_fmas_f64 v[28:29], v[28:29], v[30:31], v[32:33]
	s_wait_loadcnt 0x0
	v_fma_f64 v[30:31], v[24:25], v[6:7], v[4:5]
	v_fma_f64 v[4:5], -v[24:25], v[4:5], v[6:7]
	v_div_fixup_f64 v[26:27], v[28:29], v[26:27], 1.0
	s_delay_alu instid0(VALU_DEP_1) | instskip(NEXT) | instid1(VALU_DEP_3)
	v_mul_f64_e32 v[24:25], v[26:27], v[30:31]
	v_mul_f64_e32 v[26:27], v[4:5], v[26:27]
.LBB8_198:                              ;   in Loop: Header=BB8_6 Depth=1
	s_or_b32 exec_lo, exec_lo, s58
	s_wait_loadcnt 0x0
	global_load_b128 v[4:7], v[22:23], off
                                        ; implicit-def: $vgpr28_vgpr29
                                        ; implicit-def: $vgpr30_vgpr31
	s_wait_xcnt 0x0
	s_and_saveexec_b32 s58, s7
	s_delay_alu instid0(SALU_CYCLE_1)
	s_xor_b32 s7, exec_lo, s58
	s_cbranch_execz .LBB8_200
; %bb.199:                              ;   in Loop: Header=BB8_6 Depth=1
	v_div_scale_f64 v[28:29], null, v[2:3], v[2:3], v[0:1]
	v_div_scale_f64 v[46:47], vcc_lo, v[0:1], v[2:3], v[0:1]
	s_delay_alu instid0(VALU_DEP_2) | instskip(SKIP_1) | instid1(TRANS32_DEP_1)
	v_rcp_f64_e32 v[30:31], v[28:29]
	v_nop
	v_fma_f64 v[32:33], -v[28:29], v[30:31], 1.0
	s_delay_alu instid0(VALU_DEP_1) | instskip(NEXT) | instid1(VALU_DEP_1)
	v_fmac_f64_e32 v[30:31], v[30:31], v[32:33]
	v_fma_f64 v[32:33], -v[28:29], v[30:31], 1.0
	s_delay_alu instid0(VALU_DEP_1) | instskip(NEXT) | instid1(VALU_DEP_1)
	v_fmac_f64_e32 v[30:31], v[30:31], v[32:33]
	v_mul_f64_e32 v[32:33], v[46:47], v[30:31]
	s_delay_alu instid0(VALU_DEP_1) | instskip(NEXT) | instid1(VALU_DEP_1)
	v_fma_f64 v[28:29], -v[28:29], v[32:33], v[46:47]
	v_div_fmas_f64 v[28:29], v[28:29], v[30:31], v[32:33]
	s_delay_alu instid0(VALU_DEP_1) | instskip(NEXT) | instid1(VALU_DEP_1)
	v_div_fixup_f64 v[28:29], v[28:29], v[2:3], v[0:1]
	v_fma_f64 v[30:31], v[0:1], v[28:29], v[2:3]
	s_delay_alu instid0(VALU_DEP_1) | instskip(SKIP_1) | instid1(VALU_DEP_2)
	v_div_scale_f64 v[32:33], null, v[30:31], v[30:31], 1.0
	v_div_scale_f64 v[50:51], vcc_lo, 1.0, v[30:31], 1.0
	v_rcp_f64_e32 v[46:47], v[32:33]
	v_nop
	s_delay_alu instid0(TRANS32_DEP_1) | instskip(NEXT) | instid1(VALU_DEP_1)
	v_fma_f64 v[48:49], -v[32:33], v[46:47], 1.0
	v_fmac_f64_e32 v[46:47], v[46:47], v[48:49]
	s_delay_alu instid0(VALU_DEP_1) | instskip(NEXT) | instid1(VALU_DEP_1)
	v_fma_f64 v[48:49], -v[32:33], v[46:47], 1.0
	v_fmac_f64_e32 v[46:47], v[46:47], v[48:49]
	s_delay_alu instid0(VALU_DEP_1) | instskip(NEXT) | instid1(VALU_DEP_1)
	v_mul_f64_e32 v[48:49], v[50:51], v[46:47]
	v_fma_f64 v[32:33], -v[32:33], v[48:49], v[50:51]
	s_delay_alu instid0(VALU_DEP_1) | instskip(SKIP_3) | instid1(VALU_DEP_3)
	v_div_fmas_f64 v[32:33], v[32:33], v[46:47], v[48:49]
	s_wait_loadcnt 0x0
	v_fma_f64 v[46:47], v[28:29], v[4:5], v[6:7]
	v_fma_f64 v[4:5], v[28:29], v[6:7], -v[4:5]
	v_div_fixup_f64 v[30:31], v[32:33], v[30:31], 1.0
	s_delay_alu instid0(VALU_DEP_1) | instskip(NEXT) | instid1(VALU_DEP_3)
	v_mul_f64_e32 v[28:29], v[30:31], v[46:47]
	v_mul_f64_e32 v[30:31], v[30:31], v[4:5]
                                        ; implicit-def: $vgpr6_vgpr7
.LBB8_200:                              ;   in Loop: Header=BB8_6 Depth=1
	s_and_not1_saveexec_b32 s7, s7
	s_cbranch_execz .LBB8_202
; %bb.201:                              ;   in Loop: Header=BB8_6 Depth=1
	v_div_scale_f64 v[28:29], null, v[0:1], v[0:1], v[2:3]
	v_div_scale_f64 v[46:47], vcc_lo, v[2:3], v[0:1], v[2:3]
	s_delay_alu instid0(VALU_DEP_2) | instskip(SKIP_1) | instid1(TRANS32_DEP_1)
	v_rcp_f64_e32 v[30:31], v[28:29]
	v_nop
	v_fma_f64 v[32:33], -v[28:29], v[30:31], 1.0
	s_delay_alu instid0(VALU_DEP_1) | instskip(NEXT) | instid1(VALU_DEP_1)
	v_fmac_f64_e32 v[30:31], v[30:31], v[32:33]
	v_fma_f64 v[32:33], -v[28:29], v[30:31], 1.0
	s_delay_alu instid0(VALU_DEP_1) | instskip(NEXT) | instid1(VALU_DEP_1)
	v_fmac_f64_e32 v[30:31], v[30:31], v[32:33]
	v_mul_f64_e32 v[32:33], v[46:47], v[30:31]
	s_delay_alu instid0(VALU_DEP_1) | instskip(NEXT) | instid1(VALU_DEP_1)
	v_fma_f64 v[28:29], -v[28:29], v[32:33], v[46:47]
	v_div_fmas_f64 v[28:29], v[28:29], v[30:31], v[32:33]
	s_delay_alu instid0(VALU_DEP_1) | instskip(NEXT) | instid1(VALU_DEP_1)
	v_div_fixup_f64 v[28:29], v[28:29], v[0:1], v[2:3]
	v_fma_f64 v[30:31], v[2:3], v[28:29], v[0:1]
	s_delay_alu instid0(VALU_DEP_1) | instskip(SKIP_1) | instid1(VALU_DEP_2)
	v_div_scale_f64 v[32:33], null, v[30:31], v[30:31], 1.0
	v_div_scale_f64 v[50:51], vcc_lo, 1.0, v[30:31], 1.0
	v_rcp_f64_e32 v[46:47], v[32:33]
	v_nop
	s_delay_alu instid0(TRANS32_DEP_1) | instskip(NEXT) | instid1(VALU_DEP_1)
	v_fma_f64 v[48:49], -v[32:33], v[46:47], 1.0
	v_fmac_f64_e32 v[46:47], v[46:47], v[48:49]
	s_delay_alu instid0(VALU_DEP_1) | instskip(NEXT) | instid1(VALU_DEP_1)
	v_fma_f64 v[48:49], -v[32:33], v[46:47], 1.0
	v_fmac_f64_e32 v[46:47], v[46:47], v[48:49]
	s_delay_alu instid0(VALU_DEP_1) | instskip(NEXT) | instid1(VALU_DEP_1)
	v_mul_f64_e32 v[48:49], v[50:51], v[46:47]
	v_fma_f64 v[32:33], -v[32:33], v[48:49], v[50:51]
	s_delay_alu instid0(VALU_DEP_1) | instskip(SKIP_3) | instid1(VALU_DEP_3)
	v_div_fmas_f64 v[32:33], v[32:33], v[46:47], v[48:49]
	s_wait_loadcnt 0x0
	v_fma_f64 v[46:47], v[28:29], v[6:7], v[4:5]
	v_fma_f64 v[4:5], -v[28:29], v[4:5], v[6:7]
	v_div_fixup_f64 v[30:31], v[32:33], v[30:31], 1.0
	s_delay_alu instid0(VALU_DEP_1) | instskip(NEXT) | instid1(VALU_DEP_3)
	v_mul_f64_e32 v[28:29], v[30:31], v[46:47]
	v_mul_f64_e32 v[30:31], v[30:31], v[4:5]
.LBB8_202:                              ;   in Loop: Header=BB8_6 Depth=1
	s_or_b32 exec_lo, exec_lo, s7
	s_wait_loadcnt 0x0
	s_delay_alu instid0(VALU_DEP_1) | instskip(NEXT) | instid1(VALU_DEP_3)
	v_mul_f64_e32 v[4:5], v[26:27], v[30:31]
	v_mul_f64_e32 v[32:33], v[26:27], v[28:29]
	s_delay_alu instid0(VALU_DEP_2) | instskip(NEXT) | instid1(VALU_DEP_2)
	v_fma_f64 v[4:5], v[24:25], v[28:29], -v[4:5]
	v_fmac_f64_e32 v[32:33], v[24:25], v[30:31]
	s_delay_alu instid0(VALU_DEP_2) | instskip(NEXT) | instid1(VALU_DEP_2)
	v_add_f64_e32 v[4:5], -1.0, v[4:5]
	v_mul_f64_e32 v[46:47], v[2:3], v[32:33]
	s_delay_alu instid0(VALU_DEP_2) | instskip(NEXT) | instid1(VALU_DEP_2)
	v_mul_f64_e32 v[6:7], v[2:3], v[4:5]
	v_fma_f64 v[4:5], v[0:1], v[4:5], -v[46:47]
                                        ; implicit-def: $vgpr2_vgpr3
	s_delay_alu instid0(VALU_DEP_2) | instskip(NEXT) | instid1(VALU_DEP_1)
	v_fmac_f64_e32 v[6:7], v[0:1], v[32:33]
                                        ; implicit-def: $vgpr0_vgpr1
	v_cmp_ngt_f64_e64 s7, |v[4:5]|, |v[6:7]|
	s_and_saveexec_b32 s58, s7
	s_delay_alu instid0(SALU_CYCLE_1)
	s_xor_b32 s7, exec_lo, s58
	s_cbranch_execz .LBB8_204
; %bb.203:                              ;   in Loop: Header=BB8_6 Depth=1
	v_div_scale_f64 v[0:1], null, v[6:7], v[6:7], v[4:5]
	v_div_scale_f64 v[46:47], vcc_lo, v[4:5], v[6:7], v[4:5]
	s_delay_alu instid0(VALU_DEP_2) | instskip(SKIP_1) | instid1(TRANS32_DEP_1)
	v_rcp_f64_e32 v[2:3], v[0:1]
	v_nop
	v_fma_f64 v[32:33], -v[0:1], v[2:3], 1.0
	s_delay_alu instid0(VALU_DEP_1) | instskip(NEXT) | instid1(VALU_DEP_1)
	v_fmac_f64_e32 v[2:3], v[2:3], v[32:33]
	v_fma_f64 v[32:33], -v[0:1], v[2:3], 1.0
	s_delay_alu instid0(VALU_DEP_1) | instskip(NEXT) | instid1(VALU_DEP_1)
	v_fmac_f64_e32 v[2:3], v[2:3], v[32:33]
	v_mul_f64_e32 v[32:33], v[46:47], v[2:3]
	s_delay_alu instid0(VALU_DEP_1) | instskip(NEXT) | instid1(VALU_DEP_1)
	v_fma_f64 v[0:1], -v[0:1], v[32:33], v[46:47]
	v_div_fmas_f64 v[0:1], v[0:1], v[2:3], v[32:33]
	s_delay_alu instid0(VALU_DEP_1) | instskip(NEXT) | instid1(VALU_DEP_1)
	v_div_fixup_f64 v[0:1], v[0:1], v[6:7], v[4:5]
	v_fmac_f64_e32 v[6:7], v[4:5], v[0:1]
	s_delay_alu instid0(VALU_DEP_1) | instskip(SKIP_1) | instid1(VALU_DEP_2)
	v_div_scale_f64 v[2:3], null, v[6:7], v[6:7], 1.0
	v_div_scale_f64 v[46:47], vcc_lo, 1.0, v[6:7], 1.0
	v_rcp_f64_e32 v[4:5], v[2:3]
	v_nop
	s_delay_alu instid0(TRANS32_DEP_1) | instskip(NEXT) | instid1(VALU_DEP_1)
	v_fma_f64 v[32:33], -v[2:3], v[4:5], 1.0
	v_fmac_f64_e32 v[4:5], v[4:5], v[32:33]
	s_delay_alu instid0(VALU_DEP_1) | instskip(NEXT) | instid1(VALU_DEP_1)
	v_fma_f64 v[32:33], -v[2:3], v[4:5], 1.0
	v_fmac_f64_e32 v[4:5], v[4:5], v[32:33]
	s_delay_alu instid0(VALU_DEP_1) | instskip(NEXT) | instid1(VALU_DEP_1)
	v_mul_f64_e32 v[32:33], v[46:47], v[4:5]
	v_fma_f64 v[2:3], -v[2:3], v[32:33], v[46:47]
	s_delay_alu instid0(VALU_DEP_1) | instskip(SKIP_1) | instid1(VALU_DEP_2)
	v_div_fmas_f64 v[2:3], v[2:3], v[4:5], v[32:33]
	v_add_f64_e32 v[4:5], 0, v[0:1]
	v_div_fixup_f64 v[2:3], v[2:3], v[6:7], 1.0
	v_fma_f64 v[6:7], v[0:1], 0, -1.0
	s_delay_alu instid0(VALU_DEP_2) | instskip(NEXT) | instid1(VALU_DEP_2)
	v_mul_f64_e32 v[0:1], v[4:5], v[2:3]
	v_mul_f64_e32 v[2:3], v[6:7], v[2:3]
                                        ; implicit-def: $vgpr4_vgpr5
                                        ; implicit-def: $vgpr6_vgpr7
.LBB8_204:                              ;   in Loop: Header=BB8_6 Depth=1
	s_and_not1_saveexec_b32 s7, s7
	s_cbranch_execz .LBB8_206
; %bb.205:                              ;   in Loop: Header=BB8_6 Depth=1
	v_div_scale_f64 v[0:1], null, v[4:5], v[4:5], v[6:7]
	v_div_scale_f64 v[46:47], vcc_lo, v[6:7], v[4:5], v[6:7]
	s_delay_alu instid0(VALU_DEP_2) | instskip(SKIP_1) | instid1(TRANS32_DEP_1)
	v_rcp_f64_e32 v[2:3], v[0:1]
	v_nop
	v_fma_f64 v[32:33], -v[0:1], v[2:3], 1.0
	s_delay_alu instid0(VALU_DEP_1) | instskip(NEXT) | instid1(VALU_DEP_1)
	v_fmac_f64_e32 v[2:3], v[2:3], v[32:33]
	v_fma_f64 v[32:33], -v[0:1], v[2:3], 1.0
	s_delay_alu instid0(VALU_DEP_1) | instskip(NEXT) | instid1(VALU_DEP_1)
	v_fmac_f64_e32 v[2:3], v[2:3], v[32:33]
	v_mul_f64_e32 v[32:33], v[46:47], v[2:3]
	s_delay_alu instid0(VALU_DEP_1) | instskip(NEXT) | instid1(VALU_DEP_1)
	v_fma_f64 v[0:1], -v[0:1], v[32:33], v[46:47]
	v_div_fmas_f64 v[0:1], v[0:1], v[2:3], v[32:33]
	s_delay_alu instid0(VALU_DEP_1) | instskip(NEXT) | instid1(VALU_DEP_1)
	v_div_fixup_f64 v[0:1], v[0:1], v[4:5], v[6:7]
	v_fmac_f64_e32 v[4:5], v[6:7], v[0:1]
	s_delay_alu instid0(VALU_DEP_1) | instskip(SKIP_1) | instid1(VALU_DEP_2)
	v_div_scale_f64 v[2:3], null, v[4:5], v[4:5], 1.0
	v_div_scale_f64 v[46:47], vcc_lo, 1.0, v[4:5], 1.0
	v_rcp_f64_e32 v[6:7], v[2:3]
	v_nop
	s_delay_alu instid0(TRANS32_DEP_1) | instskip(NEXT) | instid1(VALU_DEP_1)
	v_fma_f64 v[32:33], -v[2:3], v[6:7], 1.0
	v_fmac_f64_e32 v[6:7], v[6:7], v[32:33]
	s_delay_alu instid0(VALU_DEP_1) | instskip(NEXT) | instid1(VALU_DEP_1)
	v_fma_f64 v[32:33], -v[2:3], v[6:7], 1.0
	v_fmac_f64_e32 v[6:7], v[6:7], v[32:33]
	s_delay_alu instid0(VALU_DEP_1) | instskip(NEXT) | instid1(VALU_DEP_1)
	v_mul_f64_e32 v[32:33], v[46:47], v[6:7]
	v_fma_f64 v[2:3], -v[2:3], v[32:33], v[46:47]
	s_delay_alu instid0(VALU_DEP_1) | instskip(SKIP_1) | instid1(VALU_DEP_2)
	v_div_fmas_f64 v[2:3], v[2:3], v[6:7], v[32:33]
	v_fma_f64 v[6:7], v[0:1], 0, 1.0
	v_div_fixup_f64 v[2:3], v[2:3], v[4:5], 1.0
	v_add_f64_e64 v[4:5], -v[0:1], 0
	s_delay_alu instid0(VALU_DEP_2) | instskip(NEXT) | instid1(VALU_DEP_2)
	v_mul_f64_e32 v[0:1], v[6:7], v[2:3]
	v_mul_f64_e32 v[2:3], v[4:5], v[2:3]
.LBB8_206:                              ;   in Loop: Header=BB8_6 Depth=1
	s_or_b32 exec_lo, exec_lo, s7
	v_add_nc_u32_e32 v35, v8, v43
	s_delay_alu instid0(VALU_DEP_1)
	v_cmp_gt_i32_e32 vcc_lo, s22, v35
	s_and_b32 exec_lo, exec_lo, vcc_lo
	s_cbranch_execz .LBB8_209
; %bb.207:                              ;   in Loop: Header=BB8_6 Depth=1
	v_mul_lo_u32 v32, s53, v8
	v_mad_u32 v4, s55, v8, v43
	v_add_nc_u32_e32 v12, v35, v12
	s_mov_b32 s7, 0
	s_delay_alu instid0(VALU_DEP_3) | instskip(NEXT) | instid1(VALU_DEP_3)
	v_dual_add_nc_u32 v6, v43, v32 :: v_dual_add_nc_u32 v46, v44, v32
	v_ashrrev_i32_e32 v5, 31, v4
	s_delay_alu instid0(VALU_DEP_3) | instskip(NEXT) | instid1(VALU_DEP_3)
	v_lshl_add_u64 v[32:33], v[12:13], 4, s[44:45]
	v_ashrrev_i32_e32 v7, 31, v6
	s_delay_alu instid0(VALU_DEP_3) | instskip(NEXT) | instid1(VALU_DEP_2)
	v_lshl_add_u64 v[4:5], v[4:5], 4, s[44:45]
	v_lshl_add_u64 v[6:7], v[6:7], 4, s[50:51]
.LBB8_208:                              ;   Parent Loop BB8_6 Depth=1
                                        ; =>  This Inner Loop Header: Depth=2
	global_load_b128 v[48:51], v[4:5], off offset:-8
	global_load_b128 v[52:55], v[32:33], off offset:-8
	v_add_nc_u32_e32 v35, 0x100, v35
	s_delay_alu instid0(VALU_DEP_1) | instskip(SKIP_4) | instid1(VALU_DEP_2)
	v_cmp_le_i32_e32 vcc_lo, s22, v35
	s_or_b32 s7, vcc_lo, s7
	s_wait_loadcnt 0x1
	v_mul_f64_e32 v[56:57], v[24:25], v[50:51]
	v_mul_f64_e32 v[50:51], v[26:27], v[50:51]
	v_fmac_f64_e32 v[56:57], v[26:27], v[48:49]
	s_delay_alu instid0(VALU_DEP_2) | instskip(SKIP_1) | instid1(VALU_DEP_2)
	v_fma_f64 v[48:49], v[24:25], v[48:49], -v[50:51]
	s_wait_loadcnt 0x0
	v_add_f64_e64 v[54:55], v[56:57], -v[54:55]
	s_delay_alu instid0(VALU_DEP_2) | instskip(NEXT) | instid1(VALU_DEP_2)
	v_add_f64_e64 v[48:49], v[48:49], -v[52:53]
	v_mul_f64_e32 v[52:53], v[2:3], v[54:55]
	s_delay_alu instid0(VALU_DEP_2) | instskip(NEXT) | instid1(VALU_DEP_2)
	v_mul_f64_e32 v[50:51], v[2:3], v[48:49]
	v_fma_f64 v[48:49], v[0:1], v[48:49], -v[52:53]
	s_delay_alu instid0(VALU_DEP_2)
	v_fmac_f64_e32 v[50:51], v[0:1], v[54:55]
	global_store_b128 v[6:7], v[48:51], off offset:-8
	global_load_b128 v[48:51], v[32:33], off offset:-8
	global_load_b128 v[52:55], v[4:5], off offset:-8
	v_add_nc_u64_e32 v[6:7], 0x1000, v[6:7]
	s_wait_xcnt 0x0
	v_add_nc_u64_e32 v[4:5], 0x1000, v[4:5]
	v_add_nc_u64_e32 v[32:33], 0x1000, v[32:33]
	s_wait_loadcnt 0x1
	v_mul_f64_e32 v[56:57], v[28:29], v[50:51]
	v_mul_f64_e32 v[50:51], v[30:31], v[50:51]
	s_delay_alu instid0(VALU_DEP_2) | instskip(NEXT) | instid1(VALU_DEP_2)
	v_fmac_f64_e32 v[56:57], v[30:31], v[48:49]
	v_fma_f64 v[48:49], v[28:29], v[48:49], -v[50:51]
	s_wait_loadcnt 0x0
	s_delay_alu instid0(VALU_DEP_2) | instskip(NEXT) | instid1(VALU_DEP_2)
	v_add_f64_e64 v[54:55], v[56:57], -v[54:55]
	v_add_f64_e64 v[48:49], v[48:49], -v[52:53]
	s_delay_alu instid0(VALU_DEP_2) | instskip(NEXT) | instid1(VALU_DEP_2)
	v_mul_f64_e32 v[52:53], v[2:3], v[54:55]
	v_mul_f64_e32 v[50:51], v[2:3], v[48:49]
	s_delay_alu instid0(VALU_DEP_2) | instskip(NEXT) | instid1(VALU_DEP_2)
	v_fma_f64 v[48:49], v[0:1], v[48:49], -v[52:53]
	v_fmac_f64_e32 v[50:51], v[0:1], v[54:55]
	global_store_b128 v46, v[48:51], s[8:9] scale_offset
	s_wait_xcnt 0x0
	v_add_nc_u32_e32 v46, 0x100, v46
	s_and_not1_b32 exec_lo, exec_lo, s7
	s_cbranch_execnz .LBB8_208
.LBB8_209:                              ;   in Loop: Header=BB8_6 Depth=1
	s_or_b32 exec_lo, exec_lo, s6
	s_and_saveexec_b32 s6, s4
	s_cbranch_execz .LBB8_211
; %bb.210:                              ;   in Loop: Header=BB8_6 Depth=1
	global_load_b128 v[0:3], v[22:23], off
	v_mul_lo_u32 v4, v8, s21
	v_lshl_add_u64 v[6:7], v[8:9], 4, s[8:9]
	s_delay_alu instid0(VALU_DEP_2) | instskip(NEXT) | instid1(VALU_DEP_1)
	v_ashrrev_i32_e32 v5, 31, v4
	v_lshl_add_u64 v[4:5], v[4:5], 4, v[6:7]
	v_mul_lo_u32 v6, v45, s55
	s_wait_loadcnt 0x0
	global_store_b128 v[4:5], v[0:3], off
	global_load_b128 v[0:3], v[22:23], off offset:16
	s_wait_loadcnt 0x0
	global_store_b128 v[4:5], v[0:3], off offset:16
	global_load_b128 v[0:3], v6, s[12:13] scale_offset
	v_mul_lo_u32 v4, v45, s53
	s_wait_loadcnt 0x0
	global_store_b128 v4, v[0:3], s[8:9] scale_offset
.LBB8_211:                              ;   in Loop: Header=BB8_6 Depth=1
	s_wait_xcnt 0x0
	s_or_b32 exec_lo, exec_lo, s6
	s_wait_storecnt 0x0
	s_barrier_signal -1
	s_barrier_wait -1
                                        ; implicit-def: $vgpr22_vgpr23
                                        ; implicit-def: $vgpr4_vgpr5
                                        ; implicit-def: $vgpr46
.LBB8_212:                              ;   in Loop: Header=BB8_6 Depth=1
	s_or_saveexec_b32 s6, s5
	v_mov_b32_e32 v2, 2
	s_mov_b32 s5, 0
	s_mov_b32 s7, 0
	s_xor_b32 exec_lo, exec_lo, s6
	s_cbranch_execz .LBB8_223
; %bb.213:                              ;   in Loop: Header=BB8_6 Depth=1
	global_load_b128 v[0:3], v[22:23], off
                                        ; implicit-def: $vgpr6_vgpr7
                                        ; implicit-def: $vgpr24_vgpr25
	s_wait_loadcnt 0x0
	v_cmp_ngt_f64_e64 s7, |v[0:1]|, |v[2:3]|
	s_and_saveexec_b32 s58, s7
	s_delay_alu instid0(SALU_CYCLE_1)
	s_xor_b32 s7, exec_lo, s58
	s_cbranch_execnz .LBB8_217
; %bb.214:                              ;   in Loop: Header=BB8_6 Depth=1
	s_and_not1_saveexec_b32 s7, s7
	s_cbranch_execnz .LBB8_218
.LBB8_215:                              ;   in Loop: Header=BB8_6 Depth=1
	s_or_b32 exec_lo, exec_lo, s7
	s_and_saveexec_b32 s7, s4
	s_cbranch_execnz .LBB8_219
.LBB8_216:                              ;   in Loop: Header=BB8_6 Depth=1
	s_or_b32 exec_lo, exec_lo, s7
	s_and_saveexec_b32 s7, s3
	s_cbranch_execnz .LBB8_220
	s_branch .LBB8_222
.LBB8_217:                              ;   in Loop: Header=BB8_6 Depth=1
	v_div_scale_f64 v[6:7], null, v[2:3], v[2:3], v[0:1]
	v_div_scale_f64 v[28:29], vcc_lo, v[0:1], v[2:3], v[0:1]
	s_delay_alu instid0(VALU_DEP_2) | instskip(SKIP_1) | instid1(TRANS32_DEP_1)
	v_rcp_f64_e32 v[24:25], v[6:7]
	v_nop
	v_fma_f64 v[26:27], -v[6:7], v[24:25], 1.0
	s_delay_alu instid0(VALU_DEP_1) | instskip(NEXT) | instid1(VALU_DEP_1)
	v_fmac_f64_e32 v[24:25], v[24:25], v[26:27]
	v_fma_f64 v[26:27], -v[6:7], v[24:25], 1.0
	s_delay_alu instid0(VALU_DEP_1) | instskip(NEXT) | instid1(VALU_DEP_1)
	v_fmac_f64_e32 v[24:25], v[24:25], v[26:27]
	v_mul_f64_e32 v[26:27], v[28:29], v[24:25]
	s_delay_alu instid0(VALU_DEP_1) | instskip(NEXT) | instid1(VALU_DEP_1)
	v_fma_f64 v[6:7], -v[6:7], v[26:27], v[28:29]
	v_div_fmas_f64 v[6:7], v[6:7], v[24:25], v[26:27]
	s_delay_alu instid0(VALU_DEP_1) | instskip(NEXT) | instid1(VALU_DEP_1)
	v_div_fixup_f64 v[6:7], v[6:7], v[2:3], v[0:1]
	v_fmac_f64_e32 v[2:3], v[0:1], v[6:7]
	s_delay_alu instid0(VALU_DEP_1) | instskip(SKIP_1) | instid1(VALU_DEP_2)
	v_div_scale_f64 v[0:1], null, v[2:3], v[2:3], 1.0
	v_div_scale_f64 v[28:29], vcc_lo, 1.0, v[2:3], 1.0
	v_rcp_f64_e32 v[24:25], v[0:1]
	v_nop
	s_delay_alu instid0(TRANS32_DEP_1) | instskip(NEXT) | instid1(VALU_DEP_1)
	v_fma_f64 v[26:27], -v[0:1], v[24:25], 1.0
	v_fmac_f64_e32 v[24:25], v[24:25], v[26:27]
	s_delay_alu instid0(VALU_DEP_1) | instskip(NEXT) | instid1(VALU_DEP_1)
	v_fma_f64 v[26:27], -v[0:1], v[24:25], 1.0
	v_fmac_f64_e32 v[24:25], v[24:25], v[26:27]
	s_delay_alu instid0(VALU_DEP_1) | instskip(NEXT) | instid1(VALU_DEP_1)
	v_mul_f64_e32 v[26:27], v[28:29], v[24:25]
	v_fma_f64 v[0:1], -v[0:1], v[26:27], v[28:29]
	s_delay_alu instid0(VALU_DEP_1) | instskip(SKIP_1) | instid1(VALU_DEP_2)
	v_div_fmas_f64 v[0:1], v[0:1], v[24:25], v[26:27]
	v_add_f64_e32 v[24:25], 0, v[6:7]
	v_div_fixup_f64 v[0:1], v[0:1], v[2:3], 1.0
	v_fma_f64 v[2:3], v[6:7], 0, -1.0
	s_delay_alu instid0(VALU_DEP_2) | instskip(NEXT) | instid1(VALU_DEP_2)
	v_mul_f64_e32 v[6:7], v[24:25], v[0:1]
	v_mul_f64_e32 v[24:25], v[2:3], v[0:1]
                                        ; implicit-def: $vgpr0_vgpr1
	s_and_not1_saveexec_b32 s7, s7
	s_cbranch_execz .LBB8_215
.LBB8_218:                              ;   in Loop: Header=BB8_6 Depth=1
	v_div_scale_f64 v[6:7], null, v[0:1], v[0:1], v[2:3]
	v_div_scale_f64 v[28:29], vcc_lo, v[2:3], v[0:1], v[2:3]
	s_delay_alu instid0(VALU_DEP_2) | instskip(SKIP_1) | instid1(TRANS32_DEP_1)
	v_rcp_f64_e32 v[24:25], v[6:7]
	v_nop
	v_fma_f64 v[26:27], -v[6:7], v[24:25], 1.0
	s_delay_alu instid0(VALU_DEP_1) | instskip(NEXT) | instid1(VALU_DEP_1)
	v_fmac_f64_e32 v[24:25], v[24:25], v[26:27]
	v_fma_f64 v[26:27], -v[6:7], v[24:25], 1.0
	s_delay_alu instid0(VALU_DEP_1) | instskip(NEXT) | instid1(VALU_DEP_1)
	v_fmac_f64_e32 v[24:25], v[24:25], v[26:27]
	v_mul_f64_e32 v[26:27], v[28:29], v[24:25]
	s_delay_alu instid0(VALU_DEP_1) | instskip(NEXT) | instid1(VALU_DEP_1)
	v_fma_f64 v[6:7], -v[6:7], v[26:27], v[28:29]
	v_div_fmas_f64 v[6:7], v[6:7], v[24:25], v[26:27]
	s_delay_alu instid0(VALU_DEP_1) | instskip(NEXT) | instid1(VALU_DEP_1)
	v_div_fixup_f64 v[6:7], v[6:7], v[0:1], v[2:3]
	v_fmac_f64_e32 v[0:1], v[2:3], v[6:7]
	s_delay_alu instid0(VALU_DEP_1) | instskip(SKIP_1) | instid1(VALU_DEP_2)
	v_div_scale_f64 v[2:3], null, v[0:1], v[0:1], 1.0
	v_div_scale_f64 v[28:29], vcc_lo, 1.0, v[0:1], 1.0
	v_rcp_f64_e32 v[24:25], v[2:3]
	v_nop
	s_delay_alu instid0(TRANS32_DEP_1) | instskip(NEXT) | instid1(VALU_DEP_1)
	v_fma_f64 v[26:27], -v[2:3], v[24:25], 1.0
	v_fmac_f64_e32 v[24:25], v[24:25], v[26:27]
	s_delay_alu instid0(VALU_DEP_1) | instskip(NEXT) | instid1(VALU_DEP_1)
	v_fma_f64 v[26:27], -v[2:3], v[24:25], 1.0
	v_fmac_f64_e32 v[24:25], v[24:25], v[26:27]
	s_delay_alu instid0(VALU_DEP_1) | instskip(NEXT) | instid1(VALU_DEP_1)
	v_mul_f64_e32 v[26:27], v[28:29], v[24:25]
	v_fma_f64 v[2:3], -v[2:3], v[26:27], v[28:29]
	s_delay_alu instid0(VALU_DEP_1) | instskip(SKIP_1) | instid1(VALU_DEP_2)
	v_div_fmas_f64 v[2:3], v[2:3], v[24:25], v[26:27]
	v_fma_f64 v[24:25], v[6:7], 0, 1.0
	v_div_fixup_f64 v[0:1], v[2:3], v[0:1], 1.0
	v_add_f64_e64 v[2:3], -v[6:7], 0
	s_delay_alu instid0(VALU_DEP_2) | instskip(NEXT) | instid1(VALU_DEP_2)
	v_mul_f64_e32 v[6:7], v[24:25], v[0:1]
	v_mul_f64_e32 v[24:25], v[2:3], v[0:1]
	s_or_b32 exec_lo, exec_lo, s7
	s_and_saveexec_b32 s7, s4
	s_cbranch_execz .LBB8_216
.LBB8_219:                              ;   in Loop: Header=BB8_6 Depth=1
	global_load_b128 v[0:3], v[22:23], off
	v_mul_lo_u32 v12, v8, s53
	s_wait_loadcnt 0x0
	global_store_b128 v12, v[0:3], s[8:9] scale_offset
	s_wait_xcnt 0x0
	s_or_b32 exec_lo, exec_lo, s7
	s_and_saveexec_b32 s7, s3
	s_cbranch_execz .LBB8_222
.LBB8_220:                              ;   in Loop: Header=BB8_6 Depth=1
	v_mul_lo_u32 v0, v8, s21
	s_mov_b32 s3, 0
	s_delay_alu instid0(VALU_DEP_1)
	v_dual_mov_b32 v2, v36 :: v_dual_ashrrev_i32 v1, 31, v0
.LBB8_221:                              ;   Parent Loop BB8_6 Depth=1
                                        ; =>  This Inner Loop Header: Depth=2
	s_delay_alu instid0(VALU_DEP_1) | instskip(SKIP_1) | instid1(VALU_DEP_2)
	v_add_nc_u32_e32 v12, v8, v2
	v_add_nc_u32_e32 v2, 0x100, v2
	v_add_nc_u64_e32 v[22:23], v[12:13], v[4:5]
	s_delay_alu instid0(VALU_DEP_2) | instskip(SKIP_1) | instid1(VALU_DEP_2)
	v_cmp_ge_i32_e32 vcc_lo, v2, v46
	s_or_b32 s3, vcc_lo, s3
	v_lshl_add_u64 v[22:23], v[22:23], 4, s[12:13]
	global_load_b128 v[26:29], v[22:23], off offset:16
	s_wait_loadcnt 0x0
	v_mul_f64_e32 v[22:23], v[24:25], v[28:29]
	v_mul_f64_e32 v[30:31], v[6:7], v[28:29]
	s_delay_alu instid0(VALU_DEP_2) | instskip(NEXT) | instid1(VALU_DEP_2)
	v_fma_f64 v[28:29], v[6:7], v[26:27], -v[22:23]
	v_fmac_f64_e32 v[30:31], v[24:25], v[26:27]
	v_add_nc_u64_e32 v[22:23], v[12:13], v[0:1]
	s_delay_alu instid0(VALU_DEP_1)
	v_lshl_add_u64 v[22:23], v[22:23], 4, s[8:9]
	global_store_b128 v[22:23], v[28:31], off offset:16
	s_wait_xcnt 0x0
	s_and_not1_b32 exec_lo, exec_lo, s3
	s_cbranch_execnz .LBB8_221
.LBB8_222:                              ;   in Loop: Header=BB8_6 Depth=1
	s_or_b32 exec_lo, exec_lo, s7
	v_mov_b32_e32 v2, 1
	s_mov_b32 s7, exec_lo
	s_wait_storecnt 0x0
	s_barrier_signal -1
	s_barrier_wait -1
.LBB8_223:                              ;   in Loop: Header=BB8_6 Depth=1
	s_or_b32 exec_lo, exec_lo, s6
	s_delay_alu instid0(SALU_CYCLE_1)
	s_and_b32 vcc_lo, exec_lo, s5
	s_cbranch_vccz .LBB8_227
.LBB8_224:                              ;   in Loop: Header=BB8_6 Depth=1
	ds_load_b32 v0, v13 offset:3100
	s_wait_dscnt 0x0
	v_readfirstlane_b32 s3, v0
	s_cmp_eq_u32 s3, 0
	s_cselect_b32 s3, -1, 0
	s_delay_alu instid0(SALU_CYCLE_1) | instskip(NEXT) | instid1(SALU_CYCLE_1)
	s_and_b32 s5, s4, s3
	s_and_saveexec_b32 s3, s5
; %bb.225:                              ;   in Loop: Header=BB8_6 Depth=1
	ds_store_b32 v13, v45 offset:3100
; %bb.226:                              ;   in Loop: Header=BB8_6 Depth=1
	s_or_b32 exec_lo, exec_lo, s3
	v_dual_mov_b32 v2, 1 :: v_dual_mov_b32 v34, v8
	s_mov_b32 s7, -1
.LBB8_227:                              ;   in Loop: Header=BB8_6 Depth=1
	s_and_saveexec_b32 s3, s4
	s_cbranch_execz .LBB8_4
; %bb.228:                              ;   in Loop: Header=BB8_6 Depth=1
	v_lshl_add_u64 v[0:1], v[8:9], 2, s[10:11]
	s_xor_b32 s5, s7, -1
	s_delay_alu instid0(SALU_CYCLE_1) | instskip(NEXT) | instid1(SALU_CYCLE_1)
	s_and_saveexec_b32 s6, s5
	s_xor_b32 s5, exec_lo, s6
	s_cbranch_execz .LBB8_230
; %bb.229:                              ;   in Loop: Header=BB8_6 Depth=1
	v_not_b32_e32 v4, v34
                                        ; implicit-def: $vgpr34
	s_delay_alu instid0(VALU_DEP_1)
	v_mov_b32_e32 v5, v4
	global_store_b64 v[0:1], v[4:5], off
                                        ; implicit-def: $vgpr0_vgpr1
.LBB8_230:                              ;   in Loop: Header=BB8_6 Depth=1
	s_wait_xcnt 0x0
	s_and_not1_saveexec_b32 s5, s5
	s_cbranch_execz .LBB8_4
; %bb.231:                              ;   in Loop: Header=BB8_6 Depth=1
	v_add_nc_u32_e32 v3, 1, v34
	global_store_b32 v[0:1], v3, off
	s_branch .LBB8_4
.LBB8_232:
	s_or_b32 exec_lo, exec_lo, s39
	s_and_saveexec_b32 s0, s4
	s_cbranch_execz .LBB8_234
.LBB8_233:
	v_mov_b32_e32 v0, 0
	s_lshl_b64 s[2:3], s[34:35], 2
	s_delay_alu instid0(SALU_CYCLE_1)
	s_add_nc_u64 s[4:5], s[16:17], s[2:3]
	s_add_nc_u64 s[2:3], s[14:15], s[2:3]
	ds_load_b32 v1, v0 offset:3100
	global_store_b32 v0, v8, s[4:5]
	s_wait_dscnt 0x0
	global_store_b32 v0, v1, s[2:3]
.LBB8_234:
	s_wait_xcnt 0x0
	s_or_b32 exec_lo, exec_lo, s0
	s_delay_alu instid0(SALU_CYCLE_1)
	s_mov_b32 s1, exec_lo
	v_cmpx_gt_i32_e64 s22, v8
	s_cbranch_execz .LBB8_255
; %bb.235:
	v_dual_ashrrev_i32 v9, 31, v8 :: v_dual_mov_b32 v11, 0
	s_add_nc_u64 s[2:3], s[30:31], s[28:29]
	s_ashr_i32 s5, s21, 31
	s_mov_b32 s4, s21
	s_delay_alu instid0(VALU_DEP_1)
	v_lshlrev_b64_e32 v[0:1], 4, v[8:9]
	s_ashr_i32 s7, s22, 31
	s_mov_b32 s6, s22
	s_mov_b32 s14, 0
	s_lshl_b64 s[4:5], s[4:5], 4
	s_lshl_b64 s[6:7], s[6:7], 4
	v_cmp_ne_u32_e32 vcc_lo, 0, v8
	v_add_nc_u64_e32 v[2:3], s[2:3], v[0:1]
	s_add_nc_u64 s[2:3], s[24:25], s[26:27]
	s_delay_alu instid0(SALU_CYCLE_1) | instskip(SKIP_2) | instid1(SALU_CYCLE_1)
	v_add_nc_u64_e32 v[4:5], s[2:3], v[0:1]
	s_ashr_i32 s3, s23, 31
	s_mov_b32 s2, s23
	s_lshl_b64 s[2:3], s[2:3], 4
	s_delay_alu instid0(VALU_DEP_2) | instskip(NEXT) | instid1(VALU_DEP_1)
	v_add_nc_u64_e32 v[2:3], v[2:3], v[10:11]
	v_add_nc_u64_e32 v[2:3], s[18:19], v[2:3]
	s_delay_alu instid0(VALU_DEP_1)
	v_add_nc_u64_e32 v[0:1], 8, v[2:3]
	v_add_nc_u64_e32 v[2:3], 8, v[4:5]
	v_mov_b32_e32 v4, v8
	s_branch .LBB8_237
.LBB8_236:                              ;   in Loop: Header=BB8_237 Depth=1
	s_or_b32 exec_lo, exec_lo, s15
	v_add_nc_u32_e32 v4, s23, v4
	v_add_nc_u64_e32 v[0:1], s[2:3], v[0:1]
	v_add_nc_u64_e32 v[2:3], s[2:3], v[2:3]
	s_delay_alu instid0(VALU_DEP_3) | instskip(SKIP_1) | instid1(SALU_CYCLE_1)
	v_cmp_le_i32_e64 s0, s22, v4
	s_or_b32 s14, s0, s14
	s_and_not1_b32 exec_lo, exec_lo, s14
	s_cbranch_execz .LBB8_255
.LBB8_237:                              ; =>This Loop Header: Depth=1
                                        ;     Child Loop BB8_240 Depth 2
                                        ;       Child Loop BB8_243 Depth 3
                                        ;         Child Loop BB8_245 Depth 4
                                        ;     Child Loop BB8_251 Depth 2
                                        ;       Child Loop BB8_253 Depth 3
	s_delay_alu instid0(VALU_DEP_1) | instskip(SKIP_1) | instid1(VALU_DEP_1)
	v_sub_nc_u32_e32 v5, s22, v4
	s_mov_b32 s15, exec_lo
	v_min_i32_e32 v7, s23, v5
	s_delay_alu instid0(VALU_DEP_1)
	v_add_nc_u32_e32 v6, v7, v4
	v_cmpx_lt_i32_e32 0, v7
	s_cbranch_execz .LBB8_247
; %bb.238:                              ;   in Loop: Header=BB8_237 Depth=1
	v_mov_b64_e32 v[12:13], v[2:3]
	v_mov_b64_e32 v[14:15], v[0:1]
	v_mov_b32_e32 v16, v4
	s_mov_b32 s16, 0
	s_branch .LBB8_240
.LBB8_239:                              ;   in Loop: Header=BB8_240 Depth=2
	s_or_b32 exec_lo, exec_lo, s17
	v_add_nc_u32_e32 v16, 1, v16
	v_add_nc_u64_e32 v[14:15], 16, v[14:15]
	v_add_nc_u64_e32 v[12:13], 16, v[12:13]
	s_delay_alu instid0(VALU_DEP_3) | instskip(SKIP_1) | instid1(SALU_CYCLE_1)
	v_cmp_ge_i32_e64 s0, v16, v6
	s_or_b32 s16, s0, s16
	s_and_not1_b32 exec_lo, exec_lo, s16
	s_cbranch_execz .LBB8_247
.LBB8_240:                              ;   Parent Loop BB8_237 Depth=1
                                        ; =>  This Loop Header: Depth=2
                                        ;       Child Loop BB8_243 Depth 3
                                        ;         Child Loop BB8_245 Depth 4
	s_delay_alu instid0(VALU_DEP_1) | instskip(SKIP_1) | instid1(VALU_DEP_1)
	v_sub_nc_u32_e32 v9, v6, v16
	s_mov_b32 s17, exec_lo
	v_cmpx_lt_i32_e64 v36, v9
	s_cbranch_execz .LBB8_239
; %bb.241:                              ;   in Loop: Header=BB8_240 Depth=2
	v_mul_lo_u32 v20, v16, s21
	v_dual_mov_b32 v10, v36 :: v_dual_ashrrev_i32 v17, 31, v16
	v_mov_b64_e32 v[18:19], v[14:15]
	s_mov_b32 s18, 0
	s_delay_alu instid0(VALU_DEP_2) | instskip(NEXT) | instid1(VALU_DEP_4)
	v_lshl_add_u64 v[22:23], v[16:17], 4, s[8:9]
	v_ashrrev_i32_e32 v21, 31, v20
	s_delay_alu instid0(VALU_DEP_1)
	v_lshl_add_u64 v[20:21], v[20:21], 4, v[22:23]
	s_branch .LBB8_243
.LBB8_242:                              ;   in Loop: Header=BB8_243 Depth=3
	s_or_b32 exec_lo, exec_lo, s19
	v_lshl_add_u64 v[30:31], v[10:11], 4, v[20:21]
	s_delay_alu instid0(VALU_DEP_2)
	v_fma_f64 v[32:33], 0x80000000, v[22:23], -v[24:25]
	v_fma_f64 v[24:25], v[24:25], 0, -v[22:23]
	v_add_nc_u32_e32 v10, 0x100, v10
	v_add_nc_u64_e32 v[18:19], 0x1000, v[18:19]
	global_load_b128 v[26:29], v[30:31], off
	v_cmp_ge_i32_e64 s0, v10, v9
	s_or_b32 s18, s0, s18
	s_wait_loadcnt 0x0
	v_fmamk_f64 v[22:23], v[28:29], 0x80000000, v[26:27]
	v_fmac_f64_e32 v[28:29], 0, v[26:27]
	s_delay_alu instid0(VALU_DEP_2) | instskip(NEXT) | instid1(VALU_DEP_2)
	v_add_f64_e32 v[22:23], v[32:33], v[22:23]
	v_add_f64_e32 v[24:25], v[24:25], v[28:29]
	global_store_b128 v[30:31], v[22:25], off
	s_wait_xcnt 0x0
	s_and_not1_b32 exec_lo, exec_lo, s18
	s_cbranch_execz .LBB8_239
.LBB8_243:                              ;   Parent Loop BB8_237 Depth=1
                                        ;     Parent Loop BB8_240 Depth=2
                                        ; =>    This Loop Header: Depth=3
                                        ;         Child Loop BB8_245 Depth 4
	v_mov_b64_e32 v[22:23], 0
	v_mov_b64_e32 v[24:25], 0
	s_and_saveexec_b32 s19, vcc_lo
	s_cbranch_execz .LBB8_242
; %bb.244:                              ;   in Loop: Header=BB8_243 Depth=3
	v_mov_b64_e32 v[22:23], 0
	v_mov_b64_e32 v[26:27], v[12:13]
	;; [unrolled: 1-line block ×4, first 2 shown]
	v_mov_b32_e32 v17, v8
	s_mov_b32 s20, 0
.LBB8_245:                              ;   Parent Loop BB8_237 Depth=1
                                        ;     Parent Loop BB8_240 Depth=2
                                        ;       Parent Loop BB8_243 Depth=3
                                        ; =>      This Inner Loop Header: Depth=4
	global_load_b128 v[30:33], v[26:27], off offset:-8
	global_load_b128 v[40:43], v[28:29], off offset:-8
	s_wait_xcnt 0x0
	v_add_nc_u64_e32 v[28:29], s[4:5], v[28:29]
	v_add_nc_u64_e32 v[26:27], s[6:7], v[26:27]
	v_add_nc_u32_e32 v17, -1, v17
	s_delay_alu instid0(VALU_DEP_1) | instskip(SKIP_4) | instid1(VALU_DEP_2)
	v_cmp_eq_u32_e64 s0, 0, v17
	s_or_b32 s20, s0, s20
	s_wait_loadcnt 0x0
	v_mul_f64_e32 v[34:35], v[32:33], v[42:43]
	v_mul_f64_e32 v[42:43], v[30:31], v[42:43]
	v_fma_f64 v[30:31], v[30:31], v[40:41], -v[34:35]
	s_delay_alu instid0(VALU_DEP_2) | instskip(NEXT) | instid1(VALU_DEP_2)
	v_fmac_f64_e32 v[42:43], v[32:33], v[40:41]
	v_add_f64_e32 v[24:25], v[24:25], v[30:31]
	s_delay_alu instid0(VALU_DEP_2)
	v_add_f64_e32 v[22:23], v[22:23], v[42:43]
	s_and_not1_b32 exec_lo, exec_lo, s20
	s_cbranch_execnz .LBB8_245
; %bb.246:                              ;   in Loop: Header=BB8_243 Depth=3
	s_or_b32 exec_lo, exec_lo, s20
	s_branch .LBB8_242
.LBB8_247:                              ;   in Loop: Header=BB8_237 Depth=1
	s_or_b32 exec_lo, exec_lo, s15
	s_delay_alu instid0(SALU_CYCLE_1)
	s_mov_b32 s15, exec_lo
	v_cmpx_gt_i32_e64 s22, v6
	s_cbranch_execz .LBB8_236
; %bb.248:                              ;   in Loop: Header=BB8_237 Depth=1
	v_sub_nc_u32_e32 v9, v5, v7
	s_delay_alu instid0(VALU_DEP_1) | instskip(NEXT) | instid1(VALU_DEP_1)
	v_mul_lo_u32 v26, v9, v7
	v_cmp_lt_i32_e64 s0, v36, v26
	s_and_b32 exec_lo, exec_lo, s0
	s_cbranch_execz .LBB8_236
; %bb.249:                              ;   in Loop: Header=BB8_237 Depth=1
	v_sub_nc_u32_e32 v5, 0, v9
	v_mul_lo_u32 v16, v4, s21
	s_mov_b32 s16, 0
	v_dual_mov_b32 v13, v11 :: v_dual_ashrrev_i32 v28, 31, v9
	s_delay_alu instid0(VALU_DEP_3) | instskip(NEXT) | instid1(VALU_DEP_1)
	v_max_i32_e32 v27, v9, v5
	v_cvt_f32_u32_e32 v5, v27
	s_delay_alu instid0(VALU_DEP_4) | instskip(NEXT) | instid1(VALU_DEP_2)
	v_dual_sub_nc_u32 v7, 0, v27 :: v_dual_ashrrev_i32 v17, 31, v16
	v_rcp_iflag_f32_e32 v5, v5
	v_nop
	s_delay_alu instid0(TRANS32_DEP_1) | instskip(NEXT) | instid1(VALU_DEP_1)
	v_mul_f32_e32 v5, 0x4f7ffffe, v5
	v_cvt_u32_f32_e32 v10, v5
	s_delay_alu instid0(VALU_DEP_1) | instskip(SKIP_1) | instid1(VALU_DEP_1)
	v_mul_lo_u32 v5, v7, v10
	v_ashrrev_i32_e32 v7, 31, v6
	v_lshl_add_u64 v[6:7], v[6:7], 4, s[8:9]
	s_delay_alu instid0(VALU_DEP_3) | instskip(SKIP_1) | instid1(VALU_DEP_3)
	v_mul_hi_u32 v12, v10, v5
	v_ashrrev_i32_e32 v5, 31, v4
	v_lshl_add_u64 v[16:17], v[16:17], 4, v[6:7]
	s_delay_alu instid0(VALU_DEP_2) | instskip(NEXT) | instid1(VALU_DEP_4)
	v_lshl_add_u64 v[14:15], v[4:5], 4, s[12:13]
	v_dual_add_nc_u32 v12, v10, v12 :: v_dual_mov_b32 v10, v36
	s_branch .LBB8_251
.LBB8_250:                              ;   in Loop: Header=BB8_251 Depth=2
	s_or_b32 exec_lo, exec_lo, s17
	s_delay_alu instid0(VALU_DEP_1) | instskip(NEXT) | instid1(VALU_DEP_2)
	v_mad_u32 v22, v5, s21, v29
	v_fma_f64 v[32:33], 0x80000000, v[18:19], -v[20:21]
	v_fma_f64 v[20:21], v[20:21], 0, -v[18:19]
	v_add_nc_u32_e32 v10, 0x100, v10
	s_delay_alu instid0(VALU_DEP_1) | instskip(SKIP_2) | instid1(VALU_DEP_1)
	v_cmp_ge_i32_e64 s0, v10, v26
	v_ashrrev_i32_e32 v23, 31, v22
	s_or_b32 s16, s0, s16
	v_lshl_add_u64 v[30:31], v[22:23], 4, v[16:17]
	global_load_b128 v[22:25], v[30:31], off
	s_wait_loadcnt 0x0
	v_fmamk_f64 v[18:19], v[24:25], 0x80000000, v[22:23]
	v_fmac_f64_e32 v[24:25], 0, v[22:23]
	s_delay_alu instid0(VALU_DEP_2) | instskip(NEXT) | instid1(VALU_DEP_2)
	v_add_f64_e32 v[18:19], v[32:33], v[18:19]
	v_add_f64_e32 v[20:21], v[20:21], v[24:25]
	global_store_b128 v[30:31], v[18:21], off
	s_wait_xcnt 0x0
	s_and_not1_b32 exec_lo, exec_lo, s16
	s_cbranch_execz .LBB8_236
.LBB8_251:                              ;   Parent Loop BB8_237 Depth=1
                                        ; =>  This Loop Header: Depth=2
                                        ;       Child Loop BB8_253 Depth 3
	s_delay_alu instid0(VALU_DEP_1) | instskip(NEXT) | instid1(VALU_DEP_1)
	v_mul_u64_e32 v[18:19], v[10:11], v[12:13]
	v_mul_lo_u32 v5, v19, v27
	s_delay_alu instid0(VALU_DEP_1) | instskip(NEXT) | instid1(VALU_DEP_1)
	v_dual_add_nc_u32 v18, 1, v19 :: v_dual_sub_nc_u32 v5, v10, v5
	v_cmp_ge_u32_e64 s0, v5, v27
	s_delay_alu instid0(VALU_DEP_1) | instskip(NEXT) | instid1(VALU_DEP_1)
	v_dual_sub_nc_u32 v20, v5, v27 :: v_dual_cndmask_b32 v18, v19, v18, s0
	v_cndmask_b32_e64 v5, v5, v20, s0
	v_mov_b64_e32 v[20:21], 0
	s_delay_alu instid0(VALU_DEP_3) | instskip(NEXT) | instid1(VALU_DEP_3)
	v_add_nc_u32_e32 v19, 1, v18
	v_cmp_ge_u32_e64 s0, v5, v27
	s_delay_alu instid0(VALU_DEP_1) | instskip(SKIP_1) | instid1(VALU_DEP_2)
	v_cndmask_b32_e64 v5, v18, v19, s0
	v_mov_b64_e32 v[18:19], 0
	v_xor_b32_e32 v5, v5, v28
	s_delay_alu instid0(VALU_DEP_1) | instskip(NEXT) | instid1(VALU_DEP_1)
	v_sub_nc_u32_e32 v5, v5, v28
	v_mul_lo_u32 v22, v5, v9
	s_delay_alu instid0(VALU_DEP_1)
	v_sub_nc_u32_e32 v29, v10, v22
	s_and_saveexec_b32 s17, vcc_lo
	s_cbranch_execz .LBB8_250
; %bb.252:                              ;   in Loop: Header=BB8_251 Depth=2
	v_mov_b64_e32 v[18:19], 0
	v_mov_b64_e32 v[20:21], 0
	v_dual_mov_b32 v22, v29 :: v_dual_mov_b32 v24, v5
	v_mov_b32_e32 v30, v8
	s_mov_b32 s18, 0
.LBB8_253:                              ;   Parent Loop BB8_237 Depth=1
                                        ;     Parent Loop BB8_251 Depth=2
                                        ; =>    This Inner Loop Header: Depth=3
	s_delay_alu instid0(VALU_DEP_2) | instskip(NEXT) | instid1(VALU_DEP_2)
	v_dual_ashrrev_i32 v25, 31, v24 :: v_dual_ashrrev_i32 v23, 31, v22
	v_add_nc_u32_e32 v30, -1, v30
	s_delay_alu instid0(VALU_DEP_2) | instskip(NEXT) | instid1(VALU_DEP_3)
	v_lshl_add_u64 v[44:45], v[24:25], 4, v[14:15]
	v_lshl_add_u64 v[46:47], v[22:23], 4, v[6:7]
	global_load_b128 v[32:35], v[44:45], off
	global_load_b128 v[40:43], v[46:47], off
	v_add_nc_u32_e32 v24, s22, v24
	v_cmp_eq_u32_e64 s0, 0, v30
	v_add_nc_u32_e32 v22, s21, v22
	s_or_b32 s18, s0, s18
	s_wait_loadcnt 0x0
	s_wait_xcnt 0x1
	v_mul_f64_e32 v[44:45], v[34:35], v[42:43]
	v_mul_f64_e32 v[42:43], v[32:33], v[42:43]
	s_delay_alu instid0(VALU_DEP_2) | instskip(NEXT) | instid1(VALU_DEP_2)
	v_fma_f64 v[32:33], v[32:33], v[40:41], -v[44:45]
	v_fmac_f64_e32 v[42:43], v[34:35], v[40:41]
	s_delay_alu instid0(VALU_DEP_2) | instskip(NEXT) | instid1(VALU_DEP_2)
	v_add_f64_e32 v[20:21], v[20:21], v[32:33]
	v_add_f64_e32 v[18:19], v[18:19], v[42:43]
	s_wait_xcnt 0x0
	s_and_not1_b32 exec_lo, exec_lo, s18
	s_cbranch_execnz .LBB8_253
; %bb.254:                              ;   in Loop: Header=BB8_251 Depth=2
	s_or_b32 exec_lo, exec_lo, s18
	s_branch .LBB8_250
.LBB8_255:
	s_or_b32 exec_lo, exec_lo, s1
	s_wait_storecnt_dscnt 0x0
	s_barrier_signal -1
	s_barrier_wait -1
	s_mov_b32 s0, exec_lo
	v_cmpx_lt_i32_e32 1, v8
	s_cbranch_execz .LBB8_263
; %bb.256:
	v_lshl_add_u32 v2, v38, 4, 0x2c20
	s_lshl_b32 s1, s21, 8
	s_mov_b32 s2, 0
	s_branch .LBB8_259
.LBB8_257:                              ;   in Loop: Header=BB8_259 Depth=1
	s_wait_storecnt_dscnt 0x0
	s_barrier_signal -1
	s_barrier_wait -1
.LBB8_258:                              ;   in Loop: Header=BB8_259 Depth=1
	s_or_b32 exec_lo, exec_lo, s0
	v_cmp_gt_u32_e32 vcc_lo, 2, v3
	v_mov_b32_e32 v8, v3
	s_or_b32 s2, vcc_lo, s2
	s_delay_alu instid0(SALU_CYCLE_1)
	s_and_not1_b32 exec_lo, exec_lo, s2
	s_cbranch_execz .LBB8_263
.LBB8_259:                              ; =>This Loop Header: Depth=1
                                        ;     Child Loop BB8_262 Depth 2
	s_delay_alu instid0(VALU_DEP_1)
	v_dual_add_nc_u32 v0, -1, v8 :: v_dual_add_nc_u32 v3, -2, v8
	global_load_b32 v1, v0, s[10:11] scale_offset
	s_wait_loadcnt 0x0
	v_not_b32_e32 v4, v1
	v_cmp_gt_i32_e32 vcc_lo, 0, v1
	v_dual_add_nc_u32 v5, -1, v1 :: v_dual_cndmask_b32 v3, v0, v3, vcc_lo
	s_delay_alu instid0(VALU_DEP_1) | instskip(NEXT) | instid1(VALU_DEP_2)
	v_cndmask_b32_e32 v4, v5, v4, vcc_lo
	v_cmp_ne_u32_e64 s0, 0, v3
	s_delay_alu instid0(VALU_DEP_2) | instskip(SKIP_1) | instid1(SALU_CYCLE_1)
	v_cmp_ne_u32_e32 vcc_lo, v4, v0
	s_and_b32 s3, vcc_lo, s0
	s_and_saveexec_b32 s0, s3
	s_cbranch_execz .LBB8_258
; %bb.260:                              ;   in Loop: Header=BB8_259 Depth=1
	v_cmp_lt_i32_e32 vcc_lo, v36, v3
	s_and_b32 exec_lo, exec_lo, vcc_lo
	s_cbranch_execz .LBB8_257
; %bb.261:                              ;   in Loop: Header=BB8_259 Depth=1
	v_dual_mov_b32 v0, v37 :: v_dual_ashrrev_i32 v9, 31, v8
	v_mov_b32_e32 v5, v36
	s_mov_b32 s3, 0
.LBB8_262:                              ;   Parent Loop BB8_259 Depth=1
                                        ; =>  This Inner Loop Header: Depth=2
	s_delay_alu instid0(VALU_DEP_2) | instskip(NEXT) | instid1(VALU_DEP_2)
	v_ashrrev_i32_e32 v1, 31, v0
	v_add_nc_u32_e32 v5, 0x100, v5
	s_delay_alu instid0(VALU_DEP_2) | instskip(SKIP_1) | instid1(VALU_DEP_3)
	v_add_nc_u64_e32 v[6:7], v[0:1], v[8:9]
	v_add_nc_u32_e32 v1, v4, v0
	v_cmp_ge_i32_e32 vcc_lo, v5, v3
	v_add_nc_u32_e32 v0, s1, v0
	s_or_b32 s3, vcc_lo, s3
	s_delay_alu instid0(VALU_DEP_4)
	v_lshl_add_u64 v[6:7], v[6:7], 4, s[8:9]
	s_clause 0x1
	global_load_b128 v[10:13], v1, s[8:9] scale_offset
	global_load_b128 v[14:17], v[6:7], off offset:-16
	s_wait_loadcnt 0x1
	ds_store_2addr_b64 v2, v[10:11], v[12:13] offset1:1
	s_wait_loadcnt 0x0
	s_clause 0x1
	global_store_b128 v1, v[14:17], s[8:9] scale_offset
	global_store_b128 v[6:7], v[10:13], off offset:-16
	s_wait_xcnt 0x0
	s_and_not1_b32 exec_lo, exec_lo, s3
	s_cbranch_execnz .LBB8_262
	s_branch .LBB8_257
.LBB8_263:
	s_endpgm
.LBB8_264:
	v_mov_b32_e32 v8, 0
	s_and_saveexec_b32 s0, s4
	s_cbranch_execnz .LBB8_233
	s_branch .LBB8_234
	.section	.rodata,"a",@progbits
	.p2align	6, 0x0
	.amdhsa_kernel _ZN9rocsolver6v33100L18lasyf_kernel_lowerI19rocblas_complex_numIdEPS3_EEviiPiT0_iilS5_lS5_PT_
		.amdhsa_group_segment_fixed_size 15392
		.amdhsa_private_segment_fixed_size 0
		.amdhsa_kernarg_size 72
		.amdhsa_user_sgpr_count 4
		.amdhsa_user_sgpr_dispatch_ptr 1
		.amdhsa_user_sgpr_queue_ptr 0
		.amdhsa_user_sgpr_kernarg_segment_ptr 1
		.amdhsa_user_sgpr_dispatch_id 0
		.amdhsa_user_sgpr_kernarg_preload_length 0
		.amdhsa_user_sgpr_kernarg_preload_offset 0
		.amdhsa_user_sgpr_private_segment_size 0
		.amdhsa_wavefront_size32 1
		.amdhsa_uses_dynamic_stack 0
		.amdhsa_enable_private_segment 0
		.amdhsa_system_sgpr_workgroup_id_x 1
		.amdhsa_system_sgpr_workgroup_id_y 1
		.amdhsa_system_sgpr_workgroup_id_z 0
		.amdhsa_system_sgpr_workgroup_info 0
		.amdhsa_system_vgpr_workitem_id 2
		.amdhsa_next_free_vgpr 60
		.amdhsa_next_free_sgpr 61
		.amdhsa_named_barrier_count 0
		.amdhsa_reserve_vcc 1
		.amdhsa_float_round_mode_32 0
		.amdhsa_float_round_mode_16_64 0
		.amdhsa_float_denorm_mode_32 3
		.amdhsa_float_denorm_mode_16_64 3
		.amdhsa_fp16_overflow 0
		.amdhsa_memory_ordered 1
		.amdhsa_forward_progress 1
		.amdhsa_inst_pref_size 96
		.amdhsa_round_robin_scheduling 0
		.amdhsa_exception_fp_ieee_invalid_op 0
		.amdhsa_exception_fp_denorm_src 0
		.amdhsa_exception_fp_ieee_div_zero 0
		.amdhsa_exception_fp_ieee_overflow 0
		.amdhsa_exception_fp_ieee_underflow 0
		.amdhsa_exception_fp_ieee_inexact 0
		.amdhsa_exception_int_div_zero 0
	.end_amdhsa_kernel
	.section	.text._ZN9rocsolver6v33100L18lasyf_kernel_lowerI19rocblas_complex_numIdEPS3_EEviiPiT0_iilS5_lS5_PT_,"axG",@progbits,_ZN9rocsolver6v33100L18lasyf_kernel_lowerI19rocblas_complex_numIdEPS3_EEviiPiT0_iilS5_lS5_PT_,comdat
.Lfunc_end8:
	.size	_ZN9rocsolver6v33100L18lasyf_kernel_lowerI19rocblas_complex_numIdEPS3_EEviiPiT0_iilS5_lS5_PT_, .Lfunc_end8-_ZN9rocsolver6v33100L18lasyf_kernel_lowerI19rocblas_complex_numIdEPS3_EEviiPiT0_iilS5_lS5_PT_
                                        ; -- End function
	.set _ZN9rocsolver6v33100L18lasyf_kernel_lowerI19rocblas_complex_numIdEPS3_EEviiPiT0_iilS5_lS5_PT_.num_vgpr, 60
	.set _ZN9rocsolver6v33100L18lasyf_kernel_lowerI19rocblas_complex_numIdEPS3_EEviiPiT0_iilS5_lS5_PT_.num_agpr, 0
	.set _ZN9rocsolver6v33100L18lasyf_kernel_lowerI19rocblas_complex_numIdEPS3_EEviiPiT0_iilS5_lS5_PT_.numbered_sgpr, 61
	.set _ZN9rocsolver6v33100L18lasyf_kernel_lowerI19rocblas_complex_numIdEPS3_EEviiPiT0_iilS5_lS5_PT_.num_named_barrier, 0
	.set _ZN9rocsolver6v33100L18lasyf_kernel_lowerI19rocblas_complex_numIdEPS3_EEviiPiT0_iilS5_lS5_PT_.private_seg_size, 0
	.set _ZN9rocsolver6v33100L18lasyf_kernel_lowerI19rocblas_complex_numIdEPS3_EEviiPiT0_iilS5_lS5_PT_.uses_vcc, 1
	.set _ZN9rocsolver6v33100L18lasyf_kernel_lowerI19rocblas_complex_numIdEPS3_EEviiPiT0_iilS5_lS5_PT_.uses_flat_scratch, 0
	.set _ZN9rocsolver6v33100L18lasyf_kernel_lowerI19rocblas_complex_numIdEPS3_EEviiPiT0_iilS5_lS5_PT_.has_dyn_sized_stack, 0
	.set _ZN9rocsolver6v33100L18lasyf_kernel_lowerI19rocblas_complex_numIdEPS3_EEviiPiT0_iilS5_lS5_PT_.has_recursion, 0
	.set _ZN9rocsolver6v33100L18lasyf_kernel_lowerI19rocblas_complex_numIdEPS3_EEviiPiT0_iilS5_lS5_PT_.has_indirect_call, 0
	.section	.AMDGPU.csdata,"",@progbits
; Kernel info:
; codeLenInByte = 12176
; TotalNumSgprs: 63
; NumVgprs: 60
; ScratchSize: 0
; MemoryBound: 0
; FloatMode: 240
; IeeeMode: 1
; LDSByteSize: 15392 bytes/workgroup (compile time only)
; SGPRBlocks: 0
; VGPRBlocks: 3
; NumSGPRsForWavesPerEU: 63
; NumVGPRsForWavesPerEU: 60
; NamedBarCnt: 0
; Occupancy: 16
; WaveLimiterHint : 1
; COMPUTE_PGM_RSRC2:SCRATCH_EN: 0
; COMPUTE_PGM_RSRC2:USER_SGPR: 4
; COMPUTE_PGM_RSRC2:TRAP_HANDLER: 0
; COMPUTE_PGM_RSRC2:TGID_X_EN: 1
; COMPUTE_PGM_RSRC2:TGID_Y_EN: 1
; COMPUTE_PGM_RSRC2:TGID_Z_EN: 0
; COMPUTE_PGM_RSRC2:TIDIG_COMP_CNT: 2
	.section	.AMDGPU.gpr_maximums,"",@progbits
	.set amdgpu.max_num_vgpr, 0
	.set amdgpu.max_num_agpr, 0
	.set amdgpu.max_num_sgpr, 0
	.section	.AMDGPU.csdata,"",@progbits
	.type	__hip_cuid_173324e498052db6,@object ; @__hip_cuid_173324e498052db6
	.section	.bss,"aw",@nobits
	.globl	__hip_cuid_173324e498052db6
__hip_cuid_173324e498052db6:
	.byte	0                               ; 0x0
	.size	__hip_cuid_173324e498052db6, 1

	.ident	"AMD clang version 22.0.0git (https://github.com/RadeonOpenCompute/llvm-project roc-7.2.4 26084 f58b06dce1f9c15707c5f808fd002e18c2accf7e)"
	.section	".note.GNU-stack","",@progbits
	.addrsig
	.addrsig_sym __hip_cuid_173324e498052db6
	.amdgpu_metadata
---
amdhsa.kernels:
  - .args:
      - .address_space:  global
        .offset:         0
        .size:           8
        .value_kind:     global_buffer
      - .offset:         8
        .size:           4
        .value_kind:     by_value
      - .offset:         12
        .size:           4
        .value_kind:     by_value
      - .offset:         16
        .size:           4
        .value_kind:     by_value
      - .offset:         24
        .size:           4
        .value_kind:     hidden_block_count_x
      - .offset:         28
        .size:           4
        .value_kind:     hidden_block_count_y
      - .offset:         32
        .size:           4
        .value_kind:     hidden_block_count_z
      - .offset:         36
        .size:           2
        .value_kind:     hidden_group_size_x
      - .offset:         38
        .size:           2
        .value_kind:     hidden_group_size_y
      - .offset:         40
        .size:           2
        .value_kind:     hidden_group_size_z
      - .offset:         42
        .size:           2
        .value_kind:     hidden_remainder_x
      - .offset:         44
        .size:           2
        .value_kind:     hidden_remainder_y
      - .offset:         46
        .size:           2
        .value_kind:     hidden_remainder_z
      - .offset:         64
        .size:           8
        .value_kind:     hidden_global_offset_x
      - .offset:         72
        .size:           8
        .value_kind:     hidden_global_offset_y
      - .offset:         80
        .size:           8
        .value_kind:     hidden_global_offset_z
      - .offset:         88
        .size:           2
        .value_kind:     hidden_grid_dims
    .group_segment_fixed_size: 0
    .kernarg_segment_align: 8
    .kernarg_segment_size: 280
    .language:       OpenCL C
    .language_version:
      - 2
      - 0
    .max_flat_workgroup_size: 1024
    .name:           _ZN9rocsolver6v33100L10reset_infoIiiiEEvPT_T0_T1_S4_
    .private_segment_fixed_size: 0
    .sgpr_count:     9
    .sgpr_spill_count: 0
    .symbol:         _ZN9rocsolver6v33100L10reset_infoIiiiEEvPT_T0_T1_S4_.kd
    .uniform_work_group_size: 1
    .uses_dynamic_stack: false
    .vgpr_count:     2
    .vgpr_spill_count: 0
    .wavefront_size: 32
  - .args:
      - .offset:         0
        .size:           4
        .value_kind:     by_value
      - .offset:         4
        .size:           4
        .value_kind:     by_value
      - .address_space:  global
        .offset:         8
        .size:           8
        .value_kind:     global_buffer
      - .address_space:  global
        .offset:         16
        .size:           8
        .value_kind:     global_buffer
      - .offset:         24
        .size:           4
        .value_kind:     by_value
      - .offset:         28
        .size:           4
        .value_kind:     by_value
      - .offset:         32
        .size:           8
        .value_kind:     by_value
      - .address_space:  global
        .offset:         40
        .size:           8
        .value_kind:     global_buffer
      - .offset:         48
        .size:           8
        .value_kind:     by_value
      - .address_space:  global
        .offset:         56
        .size:           8
        .value_kind:     global_buffer
      - .address_space:  global
        .offset:         64
        .size:           8
        .value_kind:     global_buffer
    .group_segment_fixed_size: 2068
    .kernarg_segment_align: 8
    .kernarg_segment_size: 72
    .language:       OpenCL C
    .language_version:
      - 2
      - 0
    .max_flat_workgroup_size: 256
    .name:           _ZN9rocsolver6v33100L18lasyf_kernel_upperIfPfEEviiPiT0_iilS3_lS3_PT_
    .private_segment_fixed_size: 0
    .sgpr_count:     64
    .sgpr_spill_count: 0
    .symbol:         _ZN9rocsolver6v33100L18lasyf_kernel_upperIfPfEEviiPiT0_iilS3_lS3_PT_.kd
    .uniform_work_group_size: 1
    .uses_dynamic_stack: false
    .vgpr_count:     26
    .vgpr_spill_count: 0
    .wavefront_size: 32
  - .args:
      - .offset:         0
        .size:           4
        .value_kind:     by_value
      - .offset:         4
        .size:           4
        .value_kind:     by_value
      - .address_space:  global
        .offset:         8
        .size:           8
        .value_kind:     global_buffer
      - .address_space:  global
        .offset:         16
        .size:           8
        .value_kind:     global_buffer
      - .offset:         24
        .size:           4
        .value_kind:     by_value
      - .offset:         28
        .size:           4
        .value_kind:     by_value
      - .offset:         32
        .size:           8
        .value_kind:     by_value
      - .address_space:  global
        .offset:         40
        .size:           8
        .value_kind:     global_buffer
      - .offset:         48
        .size:           8
        .value_kind:     by_value
      - .address_space:  global
        .offset:         56
        .size:           8
        .value_kind:     global_buffer
      - .address_space:  global
        .offset:         64
        .size:           8
        .value_kind:     global_buffer
    .group_segment_fixed_size: 2068
    .kernarg_segment_align: 8
    .kernarg_segment_size: 72
    .language:       OpenCL C
    .language_version:
      - 2
      - 0
    .max_flat_workgroup_size: 256
    .name:           _ZN9rocsolver6v33100L18lasyf_kernel_lowerIfPfEEviiPiT0_iilS3_lS3_PT_
    .private_segment_fixed_size: 0
    .sgpr_count:     59
    .sgpr_spill_count: 0
    .symbol:         _ZN9rocsolver6v33100L18lasyf_kernel_lowerIfPfEEviiPiT0_iilS3_lS3_PT_.kd
    .uniform_work_group_size: 1
    .uses_dynamic_stack: false
    .vgpr_count:     44
    .vgpr_spill_count: 0
    .wavefront_size: 32
  - .args:
      - .offset:         0
        .size:           4
        .value_kind:     by_value
      - .offset:         4
        .size:           4
        .value_kind:     by_value
      - .address_space:  global
        .offset:         8
        .size:           8
        .value_kind:     global_buffer
      - .address_space:  global
        .offset:         16
        .size:           8
        .value_kind:     global_buffer
      - .offset:         24
        .size:           4
        .value_kind:     by_value
      - .offset:         28
        .size:           4
        .value_kind:     by_value
      - .offset:         32
        .size:           8
        .value_kind:     by_value
      - .address_space:  global
        .offset:         40
        .size:           8
        .value_kind:     global_buffer
      - .offset:         48
        .size:           8
        .value_kind:     by_value
      - .address_space:  global
        .offset:         56
        .size:           8
        .value_kind:     global_buffer
      - .address_space:  global
        .offset:         64
        .size:           8
        .value_kind:     global_buffer
    .group_segment_fixed_size: 3104
    .kernarg_segment_align: 8
    .kernarg_segment_size: 72
    .language:       OpenCL C
    .language_version:
      - 2
      - 0
    .max_flat_workgroup_size: 256
    .name:           _ZN9rocsolver6v33100L18lasyf_kernel_upperIdPdEEviiPiT0_iilS3_lS3_PT_
    .private_segment_fixed_size: 0
    .sgpr_count:     64
    .sgpr_spill_count: 0
    .symbol:         _ZN9rocsolver6v33100L18lasyf_kernel_upperIdPdEEviiPiT0_iilS3_lS3_PT_.kd
    .uniform_work_group_size: 1
    .uses_dynamic_stack: false
    .vgpr_count:     34
    .vgpr_spill_count: 0
    .wavefront_size: 32
  - .args:
      - .offset:         0
        .size:           4
        .value_kind:     by_value
      - .offset:         4
        .size:           4
        .value_kind:     by_value
      - .address_space:  global
        .offset:         8
        .size:           8
        .value_kind:     global_buffer
      - .address_space:  global
        .offset:         16
        .size:           8
        .value_kind:     global_buffer
      - .offset:         24
        .size:           4
        .value_kind:     by_value
      - .offset:         28
        .size:           4
        .value_kind:     by_value
      - .offset:         32
        .size:           8
        .value_kind:     by_value
      - .address_space:  global
        .offset:         40
        .size:           8
        .value_kind:     global_buffer
      - .offset:         48
        .size:           8
        .value_kind:     by_value
      - .address_space:  global
        .offset:         56
        .size:           8
        .value_kind:     global_buffer
      - .address_space:  global
        .offset:         64
        .size:           8
        .value_kind:     global_buffer
    .group_segment_fixed_size: 3104
    .kernarg_segment_align: 8
    .kernarg_segment_size: 72
    .language:       OpenCL C
    .language_version:
      - 2
      - 0
    .max_flat_workgroup_size: 256
    .name:           _ZN9rocsolver6v33100L18lasyf_kernel_lowerIdPdEEviiPiT0_iilS3_lS3_PT_
    .private_segment_fixed_size: 0
    .sgpr_count:     59
    .sgpr_spill_count: 0
    .symbol:         _ZN9rocsolver6v33100L18lasyf_kernel_lowerIdPdEEviiPiT0_iilS3_lS3_PT_.kd
    .uniform_work_group_size: 1
    .uses_dynamic_stack: false
    .vgpr_count:     48
    .vgpr_spill_count: 0
    .wavefront_size: 32
  - .args:
      - .offset:         0
        .size:           4
        .value_kind:     by_value
      - .offset:         4
        .size:           4
        .value_kind:     by_value
      - .address_space:  global
        .offset:         8
        .size:           8
        .value_kind:     global_buffer
      - .address_space:  global
        .offset:         16
        .size:           8
        .value_kind:     global_buffer
      - .offset:         24
        .size:           4
        .value_kind:     by_value
      - .offset:         28
        .size:           4
        .value_kind:     by_value
      - .offset:         32
        .size:           8
        .value_kind:     by_value
      - .address_space:  global
        .offset:         40
        .size:           8
        .value_kind:     global_buffer
      - .offset:         48
        .size:           8
        .value_kind:     by_value
      - .address_space:  global
        .offset:         56
        .size:           8
        .value_kind:     global_buffer
      - .address_space:  global
        .offset:         64
        .size:           8
        .value_kind:     global_buffer
    .group_segment_fixed_size: 2068
    .kernarg_segment_align: 8
    .kernarg_segment_size: 72
    .language:       OpenCL C
    .language_version:
      - 2
      - 0
    .max_flat_workgroup_size: 256
    .name:           _ZN9rocsolver6v33100L18lasyf_kernel_upperI19rocblas_complex_numIfEPS3_EEviiPiT0_iilS5_lS5_PT_
    .private_segment_fixed_size: 0
    .sgpr_count:     70
    .sgpr_spill_count: 0
    .symbol:         _ZN9rocsolver6v33100L18lasyf_kernel_upperI19rocblas_complex_numIfEPS3_EEviiPiT0_iilS5_lS5_PT_.kd
    .uniform_work_group_size: 1
    .uses_dynamic_stack: false
    .vgpr_count:     44
    .vgpr_spill_count: 0
    .wavefront_size: 32
  - .args:
      - .offset:         0
        .size:           4
        .value_kind:     by_value
      - .offset:         4
        .size:           4
        .value_kind:     by_value
      - .address_space:  global
        .offset:         8
        .size:           8
        .value_kind:     global_buffer
      - .address_space:  global
        .offset:         16
        .size:           8
        .value_kind:     global_buffer
      - .offset:         24
        .size:           4
        .value_kind:     by_value
      - .offset:         28
        .size:           4
        .value_kind:     by_value
      - .offset:         32
        .size:           8
        .value_kind:     by_value
      - .address_space:  global
        .offset:         40
        .size:           8
        .value_kind:     global_buffer
      - .offset:         48
        .size:           8
        .value_kind:     by_value
      - .address_space:  global
        .offset:         56
        .size:           8
        .value_kind:     global_buffer
      - .address_space:  global
        .offset:         64
        .size:           8
        .value_kind:     global_buffer
    .group_segment_fixed_size: 2068
    .kernarg_segment_align: 8
    .kernarg_segment_size: 72
    .language:       OpenCL C
    .language_version:
      - 2
      - 0
    .max_flat_workgroup_size: 256
    .name:           _ZN9rocsolver6v33100L18lasyf_kernel_lowerI19rocblas_complex_numIfEPS3_EEviiPiT0_iilS5_lS5_PT_
    .private_segment_fixed_size: 0
    .sgpr_count:     63
    .sgpr_spill_count: 0
    .symbol:         _ZN9rocsolver6v33100L18lasyf_kernel_lowerI19rocblas_complex_numIfEPS3_EEviiPiT0_iilS5_lS5_PT_.kd
    .uniform_work_group_size: 1
    .uses_dynamic_stack: false
    .vgpr_count:     54
    .vgpr_spill_count: 0
    .wavefront_size: 32
  - .args:
      - .offset:         0
        .size:           4
        .value_kind:     by_value
      - .offset:         4
        .size:           4
        .value_kind:     by_value
      - .address_space:  global
        .offset:         8
        .size:           8
        .value_kind:     global_buffer
      - .address_space:  global
        .offset:         16
        .size:           8
        .value_kind:     global_buffer
      - .offset:         24
        .size:           4
        .value_kind:     by_value
      - .offset:         28
        .size:           4
        .value_kind:     by_value
      - .offset:         32
        .size:           8
        .value_kind:     by_value
      - .address_space:  global
        .offset:         40
        .size:           8
        .value_kind:     global_buffer
      - .offset:         48
        .size:           8
        .value_kind:     by_value
      - .address_space:  global
        .offset:         56
        .size:           8
        .value_kind:     global_buffer
      - .address_space:  global
        .offset:         64
        .size:           8
        .value_kind:     global_buffer
    .group_segment_fixed_size: 15392
    .kernarg_segment_align: 8
    .kernarg_segment_size: 72
    .language:       OpenCL C
    .language_version:
      - 2
      - 0
    .max_flat_workgroup_size: 256
    .name:           _ZN9rocsolver6v33100L18lasyf_kernel_upperI19rocblas_complex_numIdEPS3_EEviiPiT0_iilS5_lS5_PT_
    .private_segment_fixed_size: 0
    .sgpr_count:     68
    .sgpr_spill_count: 0
    .symbol:         _ZN9rocsolver6v33100L18lasyf_kernel_upperI19rocblas_complex_numIdEPS3_EEviiPiT0_iilS5_lS5_PT_.kd
    .uniform_work_group_size: 1
    .uses_dynamic_stack: false
    .vgpr_count:     46
    .vgpr_spill_count: 0
    .wavefront_size: 32
  - .args:
      - .offset:         0
        .size:           4
        .value_kind:     by_value
      - .offset:         4
        .size:           4
        .value_kind:     by_value
      - .address_space:  global
        .offset:         8
        .size:           8
        .value_kind:     global_buffer
      - .address_space:  global
        .offset:         16
        .size:           8
        .value_kind:     global_buffer
      - .offset:         24
        .size:           4
        .value_kind:     by_value
      - .offset:         28
        .size:           4
        .value_kind:     by_value
      - .offset:         32
        .size:           8
        .value_kind:     by_value
      - .address_space:  global
        .offset:         40
        .size:           8
        .value_kind:     global_buffer
      - .offset:         48
        .size:           8
        .value_kind:     by_value
      - .address_space:  global
        .offset:         56
        .size:           8
        .value_kind:     global_buffer
      - .address_space:  global
        .offset:         64
        .size:           8
        .value_kind:     global_buffer
    .group_segment_fixed_size: 15392
    .kernarg_segment_align: 8
    .kernarg_segment_size: 72
    .language:       OpenCL C
    .language_version:
      - 2
      - 0
    .max_flat_workgroup_size: 256
    .name:           _ZN9rocsolver6v33100L18lasyf_kernel_lowerI19rocblas_complex_numIdEPS3_EEviiPiT0_iilS5_lS5_PT_
    .private_segment_fixed_size: 0
    .sgpr_count:     63
    .sgpr_spill_count: 0
    .symbol:         _ZN9rocsolver6v33100L18lasyf_kernel_lowerI19rocblas_complex_numIdEPS3_EEviiPiT0_iilS5_lS5_PT_.kd
    .uniform_work_group_size: 1
    .uses_dynamic_stack: false
    .vgpr_count:     60
    .vgpr_spill_count: 0
    .wavefront_size: 32
amdhsa.target:   amdgcn-amd-amdhsa--gfx1250
amdhsa.version:
  - 1
  - 2
...

	.end_amdgpu_metadata
